;; amdgpu-corpus repo=ROCm/rocFFT kind=compiled arch=gfx950 opt=O3
	.text
	.amdgcn_target "amdgcn-amd-amdhsa--gfx950"
	.amdhsa_code_object_version 6
	.protected	bluestein_single_fwd_len935_dim1_sp_op_CI_CI ; -- Begin function bluestein_single_fwd_len935_dim1_sp_op_CI_CI
	.globl	bluestein_single_fwd_len935_dim1_sp_op_CI_CI
	.p2align	8
	.type	bluestein_single_fwd_len935_dim1_sp_op_CI_CI,@function
bluestein_single_fwd_len935_dim1_sp_op_CI_CI: ; @bluestein_single_fwd_len935_dim1_sp_op_CI_CI
; %bb.0:
	s_load_dwordx4 s[4:7], s[0:1], 0x28
	v_mul_u32_u24_e32 v1, 0x304, v0
	v_lshrrev_b32_e32 v2, 16, v1
	v_mad_u64_u32 v[4:5], s[2:3], s2, 3, v[2:3]
	v_mov_b32_e32 v3, 0
	v_mov_b32_e32 v5, v3
	s_waitcnt lgkmcnt(0)
	v_cmp_gt_u64_e32 vcc, s[4:5], v[4:5]
	s_and_saveexec_b64 s[2:3], vcc
	s_cbranch_execz .LBB0_23
; %bb.1:
	v_mul_lo_u16_e32 v1, 0x55, v2
	s_mov_b32 s2, 0xaaaaaaab
	v_sub_u16_e32 v2, v0, v1
	v_mul_hi_u32 v0, v4, s2
	v_lshrrev_b32_e32 v0, 1, v0
	s_load_dwordx2 s[12:13], s[0:1], 0x0
	s_load_dwordx2 s[14:15], s[0:1], 0x38
	v_lshl_add_u32 v0, v0, 1, v0
	v_sub_u32_e32 v0, v4, v0
	v_mul_u32_u24_e32 v1, 0x3a7, v0
	v_lshlrev_b32_e32 v0, 3, v2
	v_accvgpr_write_b32 a2, v2
	v_accvgpr_write_b32 a0, v0
	v_lshlrev_b32_e32 v0, 3, v1
	v_accvgpr_write_b32 a4, v4
	v_cmp_gt_u16_e64 s[4:5], 55, v2
	v_accvgpr_write_b32 a3, v3
	v_accvgpr_write_b32 a1, v1
	;; [unrolled: 1-line block ×3, first 2 shown]
	s_and_saveexec_b64 s[2:3], s[4:5]
	s_cbranch_execz .LBB0_3
; %bb.2:
	s_load_dwordx2 s[8:9], s[0:1], 0x18
	v_accvgpr_read_b32 v10, a4
	v_accvgpr_read_b32 v71, a3
	v_mov_b32_e32 v0, s6
	v_mov_b32_e32 v1, s7
	s_waitcnt lgkmcnt(0)
	s_load_dwordx4 s[8:11], s[8:9], 0x0
	v_accvgpr_read_b32 v70, a2
	v_mov_b32_e32 v68, 0x1b8
	v_accvgpr_read_b32 v72, a0
	v_mov_b32_e32 v73, 0
	s_waitcnt lgkmcnt(0)
	v_mad_u64_u32 v[2:3], s[6:7], s10, v10, 0
	v_mad_u64_u32 v[4:5], s[6:7], s8, v70, 0
	v_mov_b32_e32 v6, v3
	v_mov_b32_e32 v8, v5
	v_mad_u64_u32 v[6:7], s[6:7], s11, v10, v[6:7]
	v_mov_b32_e32 v3, v6
	v_mad_u64_u32 v[6:7], s[6:7], s9, v70, v[8:9]
	v_mov_b32_e32 v5, v6
	v_lshl_add_u64 v[0:1], v[2:3], 3, v[0:1]
	v_lshl_add_u64 v[4:5], v[4:5], 3, v[0:1]
	v_mad_u64_u32 v[6:7], s[6:7], s8, v68, v[4:5]
	s_mul_i32 s6, s9, 0x1b8
	s_nop 0
	v_add_u32_e32 v7, s6, v7
	v_mad_u64_u32 v[16:17], s[10:11], s8, v68, v[6:7]
	v_add_u32_e32 v17, s6, v17
	global_load_dwordx2 v[0:1], v[4:5], off
	global_load_dwordx2 v[2:3], v72, s[12:13]
	s_movk_i32 s7, 0x1000
	global_load_dwordx2 v[4:5], v[6:7], off
	global_load_dwordx2 v[8:9], v72, s[12:13] offset:440
	s_nop 0
	global_load_dwordx2 v[6:7], v72, s[12:13] offset:880
	global_load_dwordx2 v[10:11], v72, s[12:13] offset:1320
	;; [unrolled: 1-line block ×8, first 2 shown]
	global_load_dwordx2 v[26:27], v[16:17], off
	v_mad_u64_u32 v[16:17], s[10:11], s8, v68, v[16:17]
	v_add_u32_e32 v17, s6, v17
	global_load_dwordx2 v[30:31], v[16:17], off
	v_mad_u64_u32 v[16:17], s[10:11], s8, v68, v[16:17]
	v_add_u32_e32 v17, s6, v17
	global_load_dwordx2 v[32:33], v[16:17], off
	v_mad_u64_u32 v[16:17], s[10:11], s8, v68, v[16:17]
	v_add_u32_e32 v17, s6, v17
	global_load_dwordx2 v[34:35], v[16:17], off
	v_mad_u64_u32 v[16:17], s[10:11], s8, v68, v[16:17]
	v_add_u32_e32 v17, s6, v17
	global_load_dwordx2 v[36:37], v[16:17], off
	v_mad_u64_u32 v[16:17], s[10:11], s8, v68, v[16:17]
	v_add_u32_e32 v17, s6, v17
	global_load_dwordx2 v[38:39], v[16:17], off
	v_mad_u64_u32 v[16:17], s[10:11], s8, v68, v[16:17]
	v_add_u32_e32 v17, s6, v17
	global_load_dwordx2 v[40:41], v[16:17], off
	v_mad_u64_u32 v[16:17], s[10:11], s8, v68, v[16:17]
	v_add_u32_e32 v17, s6, v17
	v_lshl_add_u64 v[28:29], s[12:13], 0, v[72:73]
	global_load_dwordx2 v[42:43], v[16:17], off
	v_mad_u64_u32 v[16:17], s[10:11], s8, v68, v[16:17]
	v_add_co_u32_e32 v28, vcc, s7, v28
	v_add_u32_e32 v17, s6, v17
	s_nop 0
	v_addc_co_u32_e32 v29, vcc, 0, v29, vcc
	global_load_dwordx2 v[44:45], v[16:17], off
	global_load_dwordx2 v[46:47], v[28:29], off offset:304
	v_mad_u64_u32 v[16:17], s[10:11], s8, v68, v[16:17]
	v_add_u32_e32 v17, s6, v17
	global_load_dwordx2 v[48:49], v[16:17], off
	global_load_dwordx2 v[50:51], v[28:29], off offset:744
	v_mad_u64_u32 v[16:17], s[10:11], s8, v68, v[16:17]
	v_add_u32_e32 v17, s6, v17
	;; [unrolled: 4-line block ×4, first 2 shown]
	global_load_dwordx2 v[60:61], v[16:17], off
	global_load_dwordx2 v[62:63], v[28:29], off offset:2064
	global_load_dwordx2 v[64:65], v[28:29], off offset:2944
	;; [unrolled: 1-line block ×3, first 2 shown]
	v_mad_u64_u32 v[16:17], s[10:11], s8, v68, v[16:17]
	v_add_u32_e32 v17, s6, v17
	global_load_dwordx2 v[28:29], v[16:17], off
	v_mad_u64_u32 v[16:17], s[8:9], s8, v68, v[16:17]
	v_add_u32_e32 v17, s6, v17
	global_load_dwordx2 v[16:17], v[16:17], off
	v_accvgpr_read_b32 v71, a5
	v_lshl_add_u32 v70, v70, 3, v71
	s_waitcnt vmcnt(32)
	v_mul_f32_e32 v68, v1, v3
	v_mul_f32_e32 v3, v0, v3
	v_fmac_f32_e32 v68, v0, v2
	v_fma_f32 v69, v1, v2, -v3
	s_waitcnt vmcnt(30)
	v_mul_f32_e32 v0, v5, v9
	v_mul_f32_e32 v1, v4, v9
	s_waitcnt vmcnt(21)
	v_mul_f32_e32 v2, v27, v7
	v_mul_f32_e32 v3, v26, v7
	v_fmac_f32_e32 v0, v4, v8
	v_fma_f32 v1, v5, v8, -v1
	v_fmac_f32_e32 v2, v26, v6
	v_fma_f32 v3, v27, v6, -v3
	v_add_u32_e32 v4, v71, v72
	ds_write_b64 v70, v[68:69]
	ds_write2_b64 v4, v[0:1], v[2:3] offset0:55 offset1:110
	s_waitcnt vmcnt(20)
	v_mul_f32_e32 v0, v31, v11
	v_mul_f32_e32 v1, v30, v11
	s_waitcnt vmcnt(19)
	v_mul_f32_e32 v2, v33, v13
	v_mul_f32_e32 v3, v32, v13
	v_fmac_f32_e32 v0, v30, v10
	v_fma_f32 v1, v31, v10, -v1
	v_fmac_f32_e32 v2, v32, v12
	v_fma_f32 v3, v33, v12, -v3
	ds_write2_b64 v4, v[0:1], v[2:3] offset0:165 offset1:220
	s_waitcnt vmcnt(18)
	v_mul_f32_e32 v0, v35, v15
	v_mul_f32_e32 v1, v34, v15
	s_waitcnt vmcnt(17)
	v_mul_f32_e32 v2, v37, v19
	v_mul_f32_e32 v3, v36, v19
	v_fmac_f32_e32 v0, v34, v14
	v_fma_f32 v1, v35, v14, -v1
	v_fmac_f32_e32 v2, v36, v18
	v_fma_f32 v3, v37, v18, -v3
	v_add_u32_e32 v5, 0x800, v4
	ds_write2_b64 v5, v[0:1], v[2:3] offset0:19 offset1:74
	s_waitcnt vmcnt(16)
	v_mul_f32_e32 v0, v39, v21
	v_mul_f32_e32 v1, v38, v21
	s_waitcnt vmcnt(15)
	v_mul_f32_e32 v2, v41, v23
	v_mul_f32_e32 v3, v40, v23
	v_fmac_f32_e32 v0, v38, v20
	v_fma_f32 v1, v39, v20, -v1
	v_fmac_f32_e32 v2, v40, v22
	v_fma_f32 v3, v41, v22, -v3
	ds_write2_b64 v5, v[0:1], v[2:3] offset0:129 offset1:184
	s_waitcnt vmcnt(14)
	v_mul_f32_e32 v0, v43, v25
	v_mul_f32_e32 v1, v42, v25
	s_waitcnt vmcnt(12)
	v_mul_f32_e32 v2, v45, v47
	v_mul_f32_e32 v3, v44, v47
	v_fmac_f32_e32 v0, v42, v24
	v_fma_f32 v1, v43, v24, -v1
	v_fmac_f32_e32 v2, v44, v46
	v_fma_f32 v3, v45, v46, -v3
	v_add_u32_e32 v5, 0xc00, v4
	ds_write2_b64 v5, v[0:1], v[2:3] offset0:111 offset1:166
	s_waitcnt vmcnt(10)
	v_mul_f32_e32 v0, v49, v51
	v_mul_f32_e32 v1, v48, v51
	s_waitcnt vmcnt(8)
	v_mul_f32_e32 v2, v53, v55
	v_mul_f32_e32 v3, v52, v55
	v_fmac_f32_e32 v0, v48, v50
	v_fma_f32 v1, v49, v50, -v1
	v_fmac_f32_e32 v2, v52, v54
	v_fma_f32 v3, v53, v54, -v3
	v_add_u32_e32 v5, 0x1000, v4
	;; [unrolled: 12-line block ×4, first 2 shown]
	ds_write2_b64 v4, v[0:1], v[2:3] offset0:57 offset1:112
.LBB0_3:
	s_or_b64 exec, exec, s[2:3]
	s_load_dwordx2 s[2:3], s[0:1], 0x20
	s_load_dwordx2 s[6:7], s[0:1], 0x8
	v_mov_b32_e32 v0, 0
	v_mov_b32_e32 v1, 0
	s_waitcnt lgkmcnt(0)
	s_barrier
	s_waitcnt lgkmcnt(0)
                                        ; implicit-def: $vgpr6
                                        ; implicit-def: $vgpr12
                                        ; implicit-def: $vgpr10
                                        ; implicit-def: $vgpr24
                                        ; implicit-def: $vgpr22
                                        ; implicit-def: $vgpr18
                                        ; implicit-def: $vgpr28
                                        ; implicit-def: $vgpr50
	s_and_saveexec_b64 s[0:1], s[4:5]
	s_cbranch_execz .LBB0_5
; %bb.4:
	v_accvgpr_read_b32 v0, a2
	v_accvgpr_read_b32 v1, a3
	v_lshlrev_b32_e32 v0, 3, v0
	v_accvgpr_read_b32 v1, a1
	v_lshl_add_u32 v32, v1, 3, v0
	v_add_u32_e32 v4, 0x400, v32
	ds_read2_b64 v[0:3], v32 offset1:55
	ds_read2_b64 v[28:31], v32 offset0:110 offset1:165
	ds_read2_b64 v[20:23], v4 offset0:92 offset1:147
	v_add_u32_e32 v4, 0x800, v32
	v_add_u32_e32 v16, 0x1000, v32
	ds_read2_b64 v[8:11], v4 offset0:74 offset1:129
	ds_read2_b64 v[4:7], v4 offset0:184 offset1:239
	;; [unrolled: 1-line block ×4, first 2 shown]
	v_add_u32_e32 v16, 0x1800, v32
	ds_read2_b64 v[16:19], v16 offset0:2 offset1:57
	ds_read_b64 v[50:51], v32 offset:7040
.LBB0_5:
	s_or_b64 exec, exec, s[0:1]
	s_waitcnt lgkmcnt(0)
	v_pk_add_f32 v[36:37], v[2:3], v[50:51] neg_lo:[0,1] neg_hi:[0,1]
	s_mov_b32 s16, 0xbf7ee86f
	v_pk_add_f32 v[32:33], v[50:51], v[2:3]
	s_mov_b32 s0, 0x3dbcf732
	v_pk_mul_f32 v[44:45], v[36:37], s[16:17] op_sel_hi:[1,0]
	v_pk_add_f32 v[38:39], v[28:29], v[18:19] neg_lo:[0,1] neg_hi:[0,1]
	s_mov_b32 s20, 0xbe3c28d5
	v_pk_fma_f32 v[46:47], v[32:33], s[0:1], v[44:45] op_sel:[0,0,1] op_sel_hi:[1,0,0]
	v_pk_add_f32 v[34:35], v[18:19], v[28:29]
	s_mov_b32 s18, 0xbf7ba420
	v_pk_fma_f32 v[70:71], v[32:33], s[0:1], v[44:45] op_sel:[0,0,1] op_sel_hi:[1,0,0] neg_lo:[0,0,1] neg_hi:[0,0,1]
	v_accvgpr_write_b32 a9, v47
	v_mov_b32_e32 v44, v46
	v_pk_mul_f32 v[46:47], v[38:39], s[20:21] op_sel_hi:[1,0]
	v_pk_add_f32 v[48:49], v[30:31], v[16:17] neg_lo:[0,1] neg_hi:[0,1]
	s_mov_b32 s50, 0x3f763a35
	v_pk_fma_f32 v[52:53], v[34:35], s[18:19], v[46:47] op_sel:[0,0,1] op_sel_hi:[1,0,0]
	v_pk_add_f32 v[42:43], v[16:17], v[30:31]
	s_mov_b32 s10, 0xbe8c1d8e
	v_mov_b32_e32 v45, v71
	v_pk_fma_f32 v[74:75], v[34:35], s[18:19], v[46:47] op_sel:[0,0,1] op_sel_hi:[1,0,0] neg_lo:[0,0,1] neg_hi:[0,0,1]
	v_accvgpr_write_b32 a11, v53
	v_mov_b32_e32 v46, v52
	v_pk_mul_f32 v[52:53], v[48:49], s[50:51] op_sel_hi:[1,0]
	v_pk_add_f32 v[64:65], v[20:21], v[26:27] neg_lo:[0,1] neg_hi:[0,1]
	s_mov_b32 s22, 0x3eb8f4ab
	v_mov_b32_e32 v47, v75
	v_pk_fma_f32 v[54:55], v[42:43], s[10:11], v[52:53] op_sel:[0,0,1] op_sel_hi:[1,0,0]
	v_pk_fma_f32 v[78:79], v[42:43], s[10:11], v[52:53] op_sel:[0,0,1] op_sel_hi:[1,0,0] neg_lo:[0,0,1] neg_hi:[0,0,1]
	v_pk_add_f32 v[44:45], v[44:45], v[0:1]
	s_mov_b32 s8, 0x3f6eb680
	v_pk_add_f32 v[40:41], v[26:27], v[20:21]
	v_mov_b32_e32 v52, v54
	v_mov_b32_e32 v53, v79
	v_pk_add_f32 v[44:45], v[46:47], v[44:45]
	v_pk_mul_f32 v[46:47], v[64:65], s[22:23] op_sel:[1,0] op_sel_hi:[0,0]
	v_pk_add_f32 v[44:45], v[52:53], v[44:45]
	v_pk_fma_f32 v[52:53], v[40:41], s[8:9], v[46:47] op_sel_hi:[1,0,1]
	v_pk_fma_f32 v[82:83], v[40:41], s[8:9], v[46:47] op_sel_hi:[1,0,1] neg_lo:[0,0,1] neg_hi:[0,0,1]
	v_mov_b32_e32 v46, v52
	v_mov_b32_e32 v47, v83
	s_mov_b32 s52, 0xbf65296c
	v_pk_add_f32 v[84:85], v[22:23], v[24:25] neg_lo:[0,1] neg_hi:[0,1]
	v_pk_add_f32 v[44:45], v[46:47], v[44:45]
	s_mov_b32 s24, 0x3ee437d1
	v_pk_add_f32 v[56:57], v[24:25], v[22:23]
	v_pk_mul_f32 v[46:47], v[84:85], s[52:53] op_sel:[1,0] op_sel_hi:[0,0]
	v_accvgpr_write_b32 a15, v53
	v_pk_fma_f32 v[52:53], v[56:57], s[24:25], v[46:47] op_sel_hi:[1,0,1]
	v_pk_fma_f32 v[94:95], v[56:57], s[24:25], v[46:47] op_sel_hi:[1,0,1] neg_lo:[0,0,1] neg_hi:[0,0,1]
	v_mov_b32_e32 v46, v52
	v_mov_b32_e32 v47, v95
	s_mov_b32 s34, 0xbf06c442
	v_pk_add_f32 v[88:89], v[8:9], v[14:15] neg_lo:[0,1] neg_hi:[0,1]
	v_pk_add_f32 v[44:45], v[46:47], v[44:45]
	s_mov_b32 s30, 0xbf59a7d5
	v_pk_add_f32 v[60:61], v[14:15], v[8:9]
	v_pk_mul_f32 v[46:47], v[88:89], s[34:35] op_sel:[1,0] op_sel_hi:[0,0]
	v_accvgpr_write_b32 a17, v53
	;; [unrolled: 11-line block ×3, first 2 shown]
	v_pk_fma_f32 v[52:53], v[62:63], s[26:27], v[46:47] op_sel_hi:[1,0,1]
	v_pk_fma_f32 v[102:103], v[62:63], s[26:27], v[46:47] op_sel_hi:[1,0,1] neg_lo:[0,0,1] neg_hi:[0,0,1]
	v_mov_b32_e32 v46, v52
	v_mov_b32_e32 v47, v103
	s_mov_b32 s28, 0xbf763a35
	v_pk_add_f32 v[44:45], v[46:47], v[44:45]
	s_mov_b32 s48, 0x3f06c442
	v_pk_mul_f32 v[46:47], v[36:37], s[28:29] op_sel_hi:[1,0]
	v_accvgpr_write_b32 a21, v53
	v_pk_fma_f32 v[104:105], v[32:33], s[10:11], v[46:47] op_sel:[0,0,1] op_sel_hi:[1,0,0]
	v_pk_fma_f32 v[106:107], v[32:33], s[10:11], v[46:47] op_sel:[0,0,1] op_sel_hi:[1,0,0] neg_lo:[0,0,1] neg_hi:[0,0,1]
	v_pk_mul_f32 v[52:53], v[38:39], s[48:49] op_sel_hi:[1,0]
	v_mov_b32_e32 v46, v104
	v_mov_b32_e32 v47, v107
	v_pk_fma_f32 v[108:109], v[34:35], s[30:31], v[52:53] op_sel:[0,0,1] op_sel_hi:[1,0,0]
	v_pk_fma_f32 v[110:111], v[34:35], s[30:31], v[52:53] op_sel:[0,0,1] op_sel_hi:[1,0,0] neg_lo:[0,0,1] neg_hi:[0,0,1]
	v_mov_b32_e32 v52, v108
	v_mov_b32_e32 v53, v111
	v_pk_add_f32 v[46:47], v[46:47], v[0:1]
	s_mov_b32 s40, 0x3f2c7751
	v_pk_add_f32 v[46:47], v[52:53], v[46:47]
	s_mov_b32 s38, 0x3f3d2fb0
	v_pk_mul_f32 v[52:53], v[48:49], s[40:41] op_sel_hi:[1,0]
	s_mov_b32 s36, 0x3f7ee86f
	v_pk_fma_f32 v[112:113], v[42:43], s[38:39], v[52:53] op_sel:[0,0,1] op_sel_hi:[1,0,0]
	v_pk_fma_f32 v[114:115], v[42:43], s[38:39], v[52:53] op_sel:[0,0,1] op_sel_hi:[1,0,0] neg_lo:[0,0,1] neg_hi:[0,0,1]
	v_mov_b32_e32 v52, v112
	v_mov_b32_e32 v53, v115
	v_pk_add_f32 v[46:47], v[52:53], v[46:47]
	v_pk_mul_f32 v[52:53], v[64:65], s[52:53] op_sel:[1,0] op_sel_hi:[0,0]
	v_pk_fma_f32 v[116:117], v[40:41], s[24:25], v[52:53] op_sel_hi:[1,0,1]
	v_pk_fma_f32 v[118:119], v[40:41], s[24:25], v[52:53] op_sel_hi:[1,0,1] neg_lo:[0,0,1] neg_hi:[0,0,1]
	v_mov_b32_e32 v52, v116
	v_mov_b32_e32 v53, v119
	v_pk_add_f32 v[46:47], v[52:53], v[46:47]
	v_pk_mul_f32 v[52:53], v[84:85], s[20:21] op_sel:[1,0] op_sel_hi:[0,0]
	v_pk_fma_f32 v[120:121], v[56:57], s[18:19], v[52:53] op_sel_hi:[1,0,1]
	v_pk_fma_f32 v[122:123], v[56:57], s[18:19], v[52:53] op_sel_hi:[1,0,1] neg_lo:[0,0,1] neg_hi:[0,0,1]
	;; [unrolled: 6-line block ×3, first 2 shown]
	v_mov_b32_e32 v52, v124
	v_mov_b32_e32 v53, v127
	s_mov_b32 s46, 0xbeb8f4ab
	v_pk_add_f32 v[46:47], v[52:53], v[46:47]
	v_pk_mul_f32 v[52:53], v[136:137], s[46:47] op_sel:[1,0] op_sel_hi:[0,0]
	v_pk_fma_f32 v[128:129], v[62:63], s[8:9], v[52:53] op_sel_hi:[1,0,1]
	v_pk_fma_f32 v[130:131], v[62:63], s[8:9], v[52:53] op_sel_hi:[1,0,1] neg_lo:[0,0,1] neg_hi:[0,0,1]
	v_mov_b32_e32 v52, v128
	v_mov_b32_e32 v53, v131
	v_pk_add_f32 v[142:143], v[4:5], v[6:7] neg_lo:[0,1] neg_hi:[0,1]
	v_pk_add_f32 v[46:47], v[52:53], v[46:47]
	v_pk_add_f32 v[66:67], v[6:7], v[4:5]
	v_pk_mul_f32 v[52:53], v[142:143], s[40:41] op_sel:[1,0] op_sel_hi:[0,0]
	v_pk_fma_f32 v[86:87], v[66:67], s[38:39], v[52:53] op_sel_hi:[1,0,1]
	v_pk_fma_f32 v[90:91], v[66:67], s[38:39], v[52:53] op_sel_hi:[1,0,1] neg_lo:[0,0,1] neg_hi:[0,0,1]
	s_mov_b32 s44, 0xbf4c4adb
	v_mov_b32_e32 v52, v86
	v_mov_b32_e32 v53, v91
	v_accvgpr_write_b32 a13, v55
	v_pk_add_f32 v[54:55], v[52:53], v[44:45]
	v_pk_mul_f32 v[44:45], v[142:143], s[44:45] op_sel:[1,0] op_sel_hi:[0,0]
	v_pk_fma_f32 v[132:133], v[66:67], s[26:27], v[44:45] op_sel_hi:[1,0,1]
	v_pk_fma_f32 v[134:135], v[66:67], s[26:27], v[44:45] op_sel_hi:[1,0,1] neg_lo:[0,0,1] neg_hi:[0,0,1]
	v_mov_b32_e32 v44, v132
	v_mov_b32_e32 v45, v135
	v_pk_add_f32 v[52:53], v[44:45], v[46:47]
	v_pk_mul_f32 v[44:45], v[36:37], s[46:47] op_sel_hi:[1,0]
	s_mov_b32 s54, 0xbf2c7751
	v_pk_fma_f32 v[164:165], v[32:33], s[8:9], v[44:45] op_sel:[0,0,1] op_sel_hi:[1,0,0]
	v_pk_fma_f32 v[154:155], v[32:33], s[8:9], v[44:45] op_sel:[0,0,1] op_sel_hi:[1,0,0] neg_lo:[0,0,1] neg_hi:[0,0,1]
	v_pk_mul_f32 v[46:47], v[38:39], s[54:55] op_sel_hi:[1,0]
	v_mov_b32_e32 v44, v164
	v_mov_b32_e32 v45, v155
	v_pk_fma_f32 v[160:161], v[34:35], s[38:39], v[46:47] op_sel:[0,0,1] op_sel_hi:[1,0,0]
	v_pk_fma_f32 v[162:163], v[34:35], s[38:39], v[46:47] op_sel:[0,0,1] op_sel_hi:[1,0,0] neg_lo:[0,0,1] neg_hi:[0,0,1]
	v_pk_add_f32 v[44:45], v[44:45], v[0:1]
	v_mov_b32_e32 v46, v160
	v_mov_b32_e32 v47, v163
	v_pk_add_f32 v[44:45], v[46:47], v[44:45]
	v_pk_mul_f32 v[46:47], v[36:37], s[54:55] op_sel_hi:[1,0]
	v_pk_mul_f32 v[92:93], v[38:39], s[50:51] op_sel_hi:[1,0]
	v_pk_fma_f32 v[178:179], v[32:33], s[38:39], v[46:47] op_sel:[0,0,1] op_sel_hi:[1,0,0]
	v_pk_fma_f32 v[138:139], v[32:33], s[38:39], v[46:47] op_sel:[0,0,1] op_sel_hi:[1,0,0] neg_lo:[0,0,1] neg_hi:[0,0,1]
	v_pk_mul_f32 v[46:47], v[38:39], s[16:17] op_sel_hi:[1,0]
	v_pk_fma_f32 v[156:157], v[34:35], s[10:11], v[92:93] op_sel:[0,0,1] op_sel_hi:[1,0,0]
	v_pk_fma_f32 v[180:181], v[34:35], s[0:1], v[46:47] op_sel:[0,0,1] op_sel_hi:[1,0,0]
	v_pk_fma_f32 v[140:141], v[34:35], s[0:1], v[46:47] op_sel:[0,0,1] op_sel_hi:[1,0,0] neg_lo:[0,0,1] neg_hi:[0,0,1]
	v_mov_b32_e32 v46, v178
	v_mov_b32_e32 v47, v139
	v_pk_add_f32 v[46:47], v[46:47], v[0:1]
	v_mov_b32_e32 v58, v180
	v_mov_b32_e32 v59, v141
	v_pk_add_f32 v[46:47], v[58:59], v[46:47]
	v_pk_mul_f32 v[58:59], v[48:49], s[52:53] op_sel_hi:[1,0]
	v_pk_fma_f32 v[158:159], v[34:35], s[10:11], v[92:93] op_sel:[0,0,1] op_sel_hi:[1,0,0] neg_lo:[0,0,1] neg_hi:[0,0,1]
	v_pk_fma_f32 v[174:175], v[42:43], s[24:25], v[58:59] op_sel:[0,0,1] op_sel_hi:[1,0,0]
	v_pk_fma_f32 v[176:177], v[42:43], s[24:25], v[58:59] op_sel:[0,0,1] op_sel_hi:[1,0,0] neg_lo:[0,0,1] neg_hi:[0,0,1]
	v_mov_b32_e32 v58, v174
	v_mov_b32_e32 v59, v177
	v_pk_add_f32 v[44:45], v[58:59], v[44:45]
	v_pk_mul_f32 v[58:59], v[48:49], s[44:45] op_sel_hi:[1,0]
	v_mov_b32_e32 v92, v156
	v_pk_fma_f32 v[144:145], v[42:43], s[26:27], v[58:59] op_sel:[0,0,1] op_sel_hi:[1,0,0]
	v_pk_fma_f32 v[146:147], v[42:43], s[26:27], v[58:59] op_sel:[0,0,1] op_sel_hi:[1,0,0] neg_lo:[0,0,1] neg_hi:[0,0,1]
	v_mov_b32_e32 v58, v144
	v_mov_b32_e32 v59, v147
	v_pk_add_f32 v[46:47], v[58:59], v[46:47]
	v_pk_mul_f32 v[58:59], v[64:65], s[16:17] op_sel:[1,0] op_sel_hi:[0,0]
	v_pk_fma_f32 v[186:187], v[40:41], s[0:1], v[58:59] op_sel_hi:[1,0,1]
	v_pk_fma_f32 v[188:189], v[40:41], s[0:1], v[58:59] op_sel_hi:[1,0,1] neg_lo:[0,0,1] neg_hi:[0,0,1]
	v_mov_b32_e32 v58, v186
	v_mov_b32_e32 v59, v189
	v_pk_add_f32 v[44:45], v[58:59], v[44:45]
	v_pk_mul_f32 v[58:59], v[64:65], s[20:21] op_sel:[1,0] op_sel_hi:[0,0]
	v_pk_fma_f32 v[166:167], v[40:41], s[18:19], v[58:59] op_sel_hi:[1,0,1]
	v_pk_fma_f32 v[168:169], v[40:41], s[18:19], v[58:59] op_sel_hi:[1,0,1] neg_lo:[0,0,1] neg_hi:[0,0,1]
	;; [unrolled: 6-line block ×7, first 2 shown]
	v_mov_b32_e32 v58, v246
	v_mov_b32_e32 v59, v253
	s_mov_b32 s48, 0x3f65296c
	v_pk_add_f32 v[44:45], v[58:59], v[44:45]
	v_pk_mul_f32 v[58:59], v[136:137], s[48:49] op_sel:[1,0] op_sel_hi:[0,0]
	v_pk_fma_f32 v[198:199], v[62:63], s[24:25], v[58:59] op_sel_hi:[1,0,1]
	v_pk_fma_f32 v[200:201], v[62:63], s[24:25], v[58:59] op_sel_hi:[1,0,1] neg_lo:[0,0,1] neg_hi:[0,0,1]
	v_mov_b32_e32 v58, v198
	v_mov_b32_e32 v59, v201
	v_pk_add_f32 v[46:47], v[58:59], v[46:47]
	v_pk_mul_f32 v[58:59], v[142:143], s[20:21] op_sel:[1,0] op_sel_hi:[0,0]
	v_pk_fma_f32 v[80:81], v[66:67], s[18:19], v[58:59] op_sel_hi:[1,0,1]
	v_pk_fma_f32 v[76:77], v[66:67], s[18:19], v[58:59] op_sel_hi:[1,0,1] neg_lo:[0,0,1] neg_hi:[0,0,1]
	v_mov_b32_e32 v58, v80
	v_mov_b32_e32 v59, v77
	v_pk_add_f32 v[44:45], v[58:59], v[44:45]
	v_pk_mul_f32 v[58:59], v[38:39], s[44:45] op_sel_hi:[1,0]
	v_accvgpr_write_b32 a6, v44
	v_accvgpr_write_b32 a7, v45
	v_pk_mul_f32 v[44:45], v[36:37], s[52:53] op_sel_hi:[1,0]
	v_pk_fma_f32 v[218:219], v[34:35], s[26:27], v[58:59] op_sel:[0,0,1] op_sel_hi:[1,0,0]
	v_pk_fma_f32 v[210:211], v[32:33], s[24:25], v[44:45] op_sel:[0,0,1] op_sel_hi:[1,0,0]
	v_pk_fma_f32 v[212:213], v[32:33], s[24:25], v[44:45] op_sel:[0,0,1] op_sel_hi:[1,0,0] neg_lo:[0,0,1] neg_hi:[0,0,1]
	v_mov_b32_e32 v44, v210
	v_mov_b32_e32 v45, v213
	v_pk_fma_f32 v[220:221], v[34:35], s[26:27], v[58:59] op_sel:[0,0,1] op_sel_hi:[1,0,0] neg_lo:[0,0,1] neg_hi:[0,0,1]
	v_mov_b32_e32 v58, v218
	v_mov_b32_e32 v59, v221
	v_pk_add_f32 v[44:45], v[44:45], v[0:1]
	s_mov_b32 s52, 0x3e3c28d5
	v_pk_add_f32 v[44:45], v[58:59], v[44:45]
	v_pk_mul_f32 v[58:59], v[48:49], s[52:53] op_sel_hi:[1,0]
	v_mov_b32_e32 v93, v159
	v_pk_fma_f32 v[228:229], v[42:43], s[18:19], v[58:59] op_sel:[0,0,1] op_sel_hi:[1,0,0]
	v_pk_fma_f32 v[230:231], v[42:43], s[18:19], v[58:59] op_sel:[0,0,1] op_sel_hi:[1,0,0] neg_lo:[0,0,1] neg_hi:[0,0,1]
	v_mov_b32_e32 v58, v228
	v_mov_b32_e32 v59, v231
	v_pk_add_f32 v[44:45], v[58:59], v[44:45]
	v_pk_mul_f32 v[58:59], v[64:65], s[50:51] op_sel:[1,0] op_sel_hi:[0,0]
	v_pk_fma_f32 v[234:235], v[40:41], s[10:11], v[58:59] op_sel_hi:[1,0,1]
	v_pk_fma_f32 v[236:237], v[40:41], s[10:11], v[58:59] op_sel_hi:[1,0,1] neg_lo:[0,0,1] neg_hi:[0,0,1]
	v_mov_b32_e32 v58, v234
	v_mov_b32_e32 v59, v237
	v_pk_add_f32 v[44:45], v[58:59], v[44:45]
	v_pk_mul_f32 v[58:59], v[84:85], s[40:41] op_sel:[1,0] op_sel_hi:[0,0]
	v_pk_fma_f32 v[238:239], v[56:57], s[38:39], v[58:59] op_sel_hi:[1,0,1]
	v_pk_fma_f32 v[244:245], v[56:57], s[38:39], v[58:59] op_sel_hi:[1,0,1] neg_lo:[0,0,1] neg_hi:[0,0,1]
	;; [unrolled: 6-line block ×5, first 2 shown]
	v_mov_b32_e32 v58, v72
	v_mov_b32_e32 v59, v69
	v_pk_add_f32 v[44:45], v[58:59], v[44:45]
	v_pk_mul_f32 v[58:59], v[36:37], s[44:45] op_sel_hi:[1,0]
	v_pk_mul_f32 v[242:243], v[142:143], s[48:49] op_sel:[1,0] op_sel_hi:[0,0]
	v_pk_fma_f32 v[148:149], v[32:33], s[26:27], v[58:59] op_sel:[0,0,1] op_sel_hi:[1,0,0]
	v_pk_fma_f32 v[152:153], v[32:33], s[26:27], v[58:59] op_sel:[0,0,1] op_sel_hi:[1,0,0] neg_lo:[0,0,1] neg_hi:[0,0,1]
	v_mov_b32_e32 v58, v148
	v_mov_b32_e32 v59, v153
	v_pk_add_f32 v[58:59], v[58:59], v[0:1]
	v_pk_fma_f32 v[100:101], v[66:67], s[24:25], v[242:243] op_sel_hi:[1,0,1]
	v_pk_add_f32 v[58:59], v[92:93], v[58:59]
	v_pk_mul_f32 v[92:93], v[48:49], s[46:47] op_sel_hi:[1,0]
	v_pk_fma_f32 v[242:243], v[66:67], s[24:25], v[242:243] op_sel_hi:[1,0,1] neg_lo:[0,0,1] neg_hi:[0,0,1]
	v_pk_fma_f32 v[190:191], v[42:43], s[8:9], v[92:93] op_sel:[0,0,1] op_sel_hi:[1,0,0]
	v_pk_fma_f32 v[192:193], v[42:43], s[8:9], v[92:93] op_sel:[0,0,1] op_sel_hi:[1,0,0] neg_lo:[0,0,1] neg_hi:[0,0,1]
	v_mov_b32_e32 v92, v190
	v_mov_b32_e32 v93, v193
	v_pk_add_f32 v[58:59], v[92:93], v[58:59]
	v_pk_mul_f32 v[92:93], v[64:65], s[34:35] op_sel:[1,0] op_sel_hi:[0,0]
	v_pk_fma_f32 v[194:195], v[40:41], s[30:31], v[92:93] op_sel_hi:[1,0,1]
	v_pk_fma_f32 v[196:197], v[40:41], s[30:31], v[92:93] op_sel_hi:[1,0,1] neg_lo:[0,0,1] neg_hi:[0,0,1]
	v_mov_b32_e32 v92, v194
	v_mov_b32_e32 v93, v197
	v_pk_add_f32 v[58:59], v[92:93], v[58:59]
	v_pk_mul_f32 v[92:93], v[84:85], s[36:37] op_sel:[1,0] op_sel_hi:[0,0]
	v_pk_fma_f32 v[204:205], v[56:57], s[0:1], v[92:93] op_sel_hi:[1,0,1]
	v_pk_fma_f32 v[206:207], v[56:57], s[0:1], v[92:93] op_sel_hi:[1,0,1] neg_lo:[0,0,1] neg_hi:[0,0,1]
	;; [unrolled: 6-line block ×5, first 2 shown]
	v_mov_b32_e32 v240, v96
	v_mov_b32_e32 v241, v93
	v_pk_add_f32 v[46:47], v[240:241], v[46:47]
	v_mov_b32_e32 v240, v100
	v_mov_b32_e32 v241, v243
	v_pk_add_f32 v[58:59], v[240:241], v[58:59]
	s_barrier
	s_and_saveexec_b64 s[50:51], s[4:5]
	s_cbranch_execz .LBB0_7
; %bb.6:
	v_pk_add_f32 v[2:3], v[2:3], v[0:1]
	v_mov_b32_e32 v155, v165
	v_pk_add_f32 v[2:3], v[28:29], v[2:3]
	v_mov_b32_e32 v163, v161
	;; [unrolled: 2-line block ×10, first 2 shown]
	v_pk_add_f32 v[2:3], v[14:15], v[2:3]
	v_accvgpr_read_b32 v15, a3
	v_accvgpr_read_b32 v14, a2
	v_mul_lo_u16_e32 v14, 17, v14
	v_accvgpr_read_b32 v15, a1
	v_add_lshl_u32 v84, v15, v14, 3
	v_pk_add_f32 v[14:15], v[154:155], v[0:1]
	v_pk_add_f32 v[2:3], v[24:25], v[2:3]
	;; [unrolled: 1-line block ×11, first 2 shown]
	v_mov_b32_e32 v213, v211
	v_pk_add_f32 v[14:15], v[252:253], v[14:15]
	v_mov_b32_e32 v141, v181
	v_pk_add_f32 v[14:15], v[76:77], v[14:15]
	ds_write2_b64 v84, v[12:13], v[14:15] offset1:1
	v_pk_add_f32 v[12:13], v[138:139], v[0:1]
	v_pk_add_f32 v[14:15], v[212:213], v[0:1]
	v_mov_b32_e32 v221, v219
	v_pk_add_f32 v[12:13], v[140:141], v[12:13]
	v_mov_b32_e32 v147, v145
	;; [unrolled: 2-line block ×13, first 2 shown]
	v_pk_add_f32 v[12:13], v[92:93], v[12:13]
	v_pk_add_f32 v[14:15], v[68:69], v[14:15]
	v_accvgpr_read_b32 v71, a9
	v_mov_b32_e32 v107, v105
	ds_write2_b64 v84, v[12:13], v[14:15] offset0:2 offset1:3
	v_pk_add_f32 v[12:13], v[70:71], v[0:1]
	v_accvgpr_read_b32 v75, a11
	v_pk_add_f32 v[14:15], v[106:107], v[0:1]
	v_mov_b32_e32 v111, v109
	v_pk_add_f32 v[12:13], v[74:75], v[12:13]
	v_accvgpr_read_b32 v79, a13
	v_pk_add_f32 v[14:15], v[110:111], v[14:15]
	v_mov_b32_e32 v115, v113
	;; [unrolled: 4-line block ×6, first 2 shown]
	v_pk_add_f32 v[12:13], v[102:103], v[12:13]
	v_mov_b32_e32 v91, v87
	v_pk_add_f32 v[14:15], v[130:131], v[14:15]
	v_mov_b32_e32 v135, v133
	v_pk_add_f32 v[12:13], v[90:91], v[12:13]
	v_pk_add_f32 v[14:15], v[134:135], v[14:15]
	ds_write2_b64 v84, v[12:13], v[14:15] offset0:4 offset1:5
	v_pk_mul_f32 v[14:15], v[36:37], s[34:35] op_sel_hi:[1,0]
	v_pk_mul_f32 v[20:21], v[38:39], s[48:49] op_sel_hi:[1,0]
	v_pk_fma_f32 v[16:17], v[32:33], s[30:31], v[14:15] op_sel:[0,0,1] op_sel_hi:[1,0,0] neg_lo:[0,0,1] neg_hi:[0,0,1]
	v_pk_fma_f32 v[14:15], v[32:33], s[30:31], v[14:15] op_sel:[0,0,1] op_sel_hi:[1,0,0]
	v_mov_b32_e32 v18, v16
	v_mov_b32_e32 v19, v15
	v_pk_fma_f32 v[22:23], v[34:35], s[24:25], v[20:21] op_sel:[0,0,1] op_sel_hi:[1,0,0] neg_lo:[0,0,1] neg_hi:[0,0,1]
	v_pk_fma_f32 v[20:21], v[34:35], s[24:25], v[20:21] op_sel:[0,0,1] op_sel_hi:[1,0,0]
	v_pk_add_f32 v[18:19], v[18:19], v[0:1]
	v_mov_b32_e32 v24, v22
	v_mov_b32_e32 v25, v21
	v_pk_add_f32 v[18:19], v[24:25], v[18:19]
	v_pk_mul_f32 v[24:25], v[48:49], s[16:17] op_sel_hi:[1,0]
	v_mov_b32_e32 v10, v65
	v_pk_fma_f32 v[26:27], v[42:43], s[0:1], v[24:25] op_sel:[0,0,1] op_sel_hi:[1,0,0] neg_lo:[0,0,1] neg_hi:[0,0,1]
	v_pk_fma_f32 v[24:25], v[42:43], s[0:1], v[24:25] op_sel:[0,0,1] op_sel_hi:[1,0,0]
	v_mov_b32_e32 v11, v64
	v_mov_b32_e32 v28, v26
	;; [unrolled: 1-line block ×3, first 2 shown]
	v_pk_add_f32 v[18:19], v[28:29], v[18:19]
	v_pk_mul_f32 v[28:29], v[10:11], s[42:43] op_sel_hi:[1,0]
	v_mov_b32_e32 v8, v85
	v_pk_fma_f32 v[30:31], v[40:41], s[26:27], v[28:29] op_sel_hi:[1,0,1] neg_lo:[0,0,1] neg_hi:[0,0,1]
	v_pk_fma_f32 v[28:29], v[40:41], s[26:27], v[28:29] op_sel_hi:[1,0,1]
	v_mov_b32_e32 v50, v30
	v_mov_b32_e32 v51, v29
	v_pk_add_f32 v[18:19], v[50:51], v[18:19]
	v_pk_mul_f32 v[50:51], v[8:9], s[46:47] op_sel_hi:[1,0]
	v_mov_b32_e32 v6, v89
	v_pk_fma_f32 v[64:65], v[56:57], s[8:9], v[50:51] op_sel_hi:[1,0,1] neg_lo:[0,0,1] neg_hi:[0,0,1]
	v_pk_fma_f32 v[50:51], v[56:57], s[8:9], v[50:51] op_sel_hi:[1,0,1]
	v_mov_b32_e32 v7, v88
	v_mov_b32_e32 v68, v64
	;; [unrolled: 1-line block ×3, first 2 shown]
	v_pk_add_f32 v[18:19], v[68:69], v[18:19]
	v_pk_mul_f32 v[68:69], v[6:7], s[20:21] op_sel_hi:[1,0]
	v_mov_b32_e32 v153, v149
	v_pk_fma_f32 v[70:71], v[60:61], s[18:19], v[68:69] op_sel_hi:[1,0,1] neg_lo:[0,0,1] neg_hi:[0,0,1]
	v_pk_fma_f32 v[68:69], v[60:61], s[18:19], v[68:69] op_sel_hi:[1,0,1]
	v_mov_b32_e32 v4, v137
	v_mov_b32_e32 v5, v136
	v_pk_add_f32 v[12:13], v[152:153], v[0:1]
	v_mov_b32_e32 v159, v157
	v_mov_b32_e32 v72, v70
	;; [unrolled: 1-line block ×3, first 2 shown]
	v_pk_add_f32 v[12:13], v[158:159], v[12:13]
	v_mov_b32_e32 v193, v191
	v_pk_add_f32 v[18:19], v[72:73], v[18:19]
	v_pk_mul_f32 v[72:73], v[4:5], s[40:41] op_sel_hi:[1,0]
	v_pk_add_f32 v[12:13], v[192:193], v[12:13]
	v_mov_b32_e32 v197, v195
	v_pk_fma_f32 v[74:75], v[62:63], s[38:39], v[72:73] op_sel_hi:[1,0,1] neg_lo:[0,0,1] neg_hi:[0,0,1]
	v_pk_fma_f32 v[72:73], v[62:63], s[38:39], v[72:73] op_sel_hi:[1,0,1]
	v_mov_b32_e32 v2, v143
	v_mov_b32_e32 v3, v142
	v_pk_add_f32 v[12:13], v[196:197], v[12:13]
	v_mov_b32_e32 v207, v205
	v_mov_b32_e32 v76, v74
	;; [unrolled: 1-line block ×3, first 2 shown]
	v_pk_add_f32 v[12:13], v[206:207], v[12:13]
	v_mov_b32_e32 v217, v215
	v_pk_add_f32 v[18:19], v[76:77], v[18:19]
	v_pk_mul_f32 v[76:77], v[2:3], s[28:29] op_sel_hi:[1,0]
	v_pk_add_f32 v[12:13], v[216:217], v[12:13]
	v_mov_b32_e32 v225, v223
	v_pk_fma_f32 v[78:79], v[66:67], s[10:11], v[76:77] op_sel_hi:[1,0,1] neg_lo:[0,0,1] neg_hi:[0,0,1]
	v_pk_fma_f32 v[76:77], v[66:67], s[10:11], v[76:77] op_sel_hi:[1,0,1]
	v_pk_add_f32 v[12:13], v[224:225], v[12:13]
	v_mov_b32_e32 v243, v101
	v_mov_b32_e32 v80, v78
	v_mov_b32_e32 v81, v77
	v_pk_add_f32 v[12:13], v[242:243], v[12:13]
	v_pk_add_f32 v[18:19], v[80:81], v[18:19]
	ds_write2_b64 v84, v[12:13], v[18:19] offset0:6 offset1:7
	v_pk_mul_f32 v[12:13], v[36:37], s[20:21] op_sel_hi:[1,0]
	v_pk_mul_f32 v[36:37], v[38:39], s[22:23] op_sel_hi:[1,0]
	v_pk_fma_f32 v[18:19], v[32:33], s[18:19], v[12:13] op_sel:[0,0,1] op_sel_hi:[1,0,0] neg_lo:[0,0,1] neg_hi:[0,0,1]
	v_pk_fma_f32 v[12:13], v[32:33], s[18:19], v[12:13] op_sel:[0,0,1] op_sel_hi:[1,0,0]
	v_mov_b32_e32 v32, v18
	v_mov_b32_e32 v33, v13
	v_pk_fma_f32 v[38:39], v[34:35], s[8:9], v[36:37] op_sel:[0,0,1] op_sel_hi:[1,0,0] neg_lo:[0,0,1] neg_hi:[0,0,1]
	v_pk_fma_f32 v[34:35], v[34:35], s[8:9], v[36:37] op_sel:[0,0,1] op_sel_hi:[1,0,0]
	v_pk_add_f32 v[32:33], v[32:33], v[0:1]
	v_mov_b32_e32 v36, v38
	v_mov_b32_e32 v37, v35
	v_pk_add_f32 v[32:33], v[36:37], v[32:33]
	v_pk_mul_f32 v[36:37], v[48:49], s[34:35] op_sel_hi:[1,0]
	v_pk_mul_f32 v[10:11], v[10:11], s[40:41] op_sel_hi:[1,0]
	v_pk_fma_f32 v[48:49], v[42:43], s[30:31], v[36:37] op_sel:[0,0,1] op_sel_hi:[1,0,0] neg_lo:[0,0,1] neg_hi:[0,0,1]
	v_pk_fma_f32 v[36:37], v[42:43], s[30:31], v[36:37] op_sel:[0,0,1] op_sel_hi:[1,0,0]
	v_mov_b32_e32 v42, v48
	v_mov_b32_e32 v43, v37
	v_pk_add_f32 v[32:33], v[42:43], v[32:33]
	v_pk_fma_f32 v[42:43], v[40:41], s[38:39], v[10:11] op_sel_hi:[1,0,1] neg_lo:[0,0,1] neg_hi:[0,0,1]
	v_pk_fma_f32 v[10:11], v[40:41], s[38:39], v[10:11] op_sel_hi:[1,0,1]
	v_mov_b32_e32 v40, v42
	v_mov_b32_e32 v41, v11
	v_pk_mul_f32 v[8:9], v[8:9], s[44:45] op_sel_hi:[1,0]
	v_pk_add_f32 v[32:33], v[40:41], v[32:33]
	v_pk_fma_f32 v[40:41], v[56:57], s[26:27], v[8:9] op_sel_hi:[1,0,1] neg_lo:[0,0,1] neg_hi:[0,0,1]
	v_pk_fma_f32 v[8:9], v[56:57], s[26:27], v[8:9] op_sel_hi:[1,0,1]
	v_mov_b32_e32 v13, v19
	v_mov_b32_e32 v15, v17
	;; [unrolled: 1-line block ×4, first 2 shown]
	v_pk_mul_f32 v[6:7], v[6:7], s[48:49] op_sel_hi:[1,0]
	v_pk_add_f32 v[12:13], v[12:13], v[0:1]
	v_mov_b32_e32 v35, v39
	v_pk_add_f32 v[0:1], v[14:15], v[0:1]
	v_mov_b32_e32 v21, v23
	v_pk_add_f32 v[32:33], v[56:57], v[32:33]
	v_pk_fma_f32 v[56:57], v[60:61], s[24:25], v[6:7] op_sel_hi:[1,0,1] neg_lo:[0,0,1] neg_hi:[0,0,1]
	v_pk_fma_f32 v[6:7], v[60:61], s[24:25], v[6:7] op_sel_hi:[1,0,1]
	v_pk_add_f32 v[12:13], v[34:35], v[12:13]
	v_mov_b32_e32 v37, v49
	v_pk_add_f32 v[0:1], v[20:21], v[0:1]
	v_mov_b32_e32 v25, v27
	v_mov_b32_e32 v60, v56
	v_mov_b32_e32 v61, v7
	v_pk_mul_f32 v[4:5], v[4:5], s[28:29] op_sel_hi:[1,0]
	v_pk_add_f32 v[12:13], v[36:37], v[12:13]
	v_mov_b32_e32 v11, v43
	v_pk_add_f32 v[0:1], v[24:25], v[0:1]
	v_mov_b32_e32 v29, v31
	v_pk_add_f32 v[32:33], v[60:61], v[32:33]
	v_pk_fma_f32 v[60:61], v[62:63], s[10:11], v[4:5] op_sel_hi:[1,0,1] neg_lo:[0,0,1] neg_hi:[0,0,1]
	v_pk_fma_f32 v[4:5], v[62:63], s[10:11], v[4:5] op_sel_hi:[1,0,1]
	v_pk_add_f32 v[10:11], v[10:11], v[12:13]
	v_mov_b32_e32 v9, v41
	v_pk_add_f32 v[0:1], v[28:29], v[0:1]
	v_mov_b32_e32 v51, v65
	v_mov_b32_e32 v62, v60
	v_mov_b32_e32 v63, v5
	;; [unrolled: 14-line block ×3, first 2 shown]
	v_pk_add_f32 v[4:5], v[4:5], v[6:7]
	v_mov_b32_e32 v3, v63
	v_pk_add_f32 v[0:1], v[72:73], v[0:1]
	v_mov_b32_e32 v77, v79
	v_pk_add_f32 v[32:33], v[66:67], v[32:33]
	v_pk_add_f32 v[2:3], v[2:3], v[4:5]
	v_pk_add_f32 v[0:1], v[76:77], v[0:1]
	ds_write2_b64 v84, v[32:33], v[2:3] offset0:8 offset1:9
	ds_write2_b64 v84, v[0:1], v[58:59] offset0:10 offset1:11
	;; [unrolled: 1-line block ×4, first 2 shown]
	ds_write_b64 v84, a[6:7] offset:128
.LBB0_7:
	s_or_b64 exec, exec, s[50:51]
	v_accvgpr_read_b32 v135, a3
	s_movk_i32 s0, 0xf1
	v_accvgpr_read_b32 v134, a2
	v_mul_lo_u16_sdwa v0, v134, s0 dst_sel:DWORD dst_unused:UNUSED_PAD src0_sel:BYTE_0 src1_sel:DWORD
	v_lshrrev_b16_e32 v31, 12, v0
	v_mul_lo_u16_e32 v0, 17, v31
	v_sub_u16_e32 v48, v134, v0
	v_mov_b32_e32 v0, 10
	v_mul_u32_u24_sdwa v0, v48, v0 dst_sel:DWORD dst_unused:UNUSED_PAD src0_sel:BYTE_0 src1_sel:DWORD
	v_lshlrev_b32_e32 v20, 3, v0
	s_load_dwordx4 s[8:11], s[2:3], 0x0
	s_waitcnt lgkmcnt(0)
	s_barrier
	global_load_dwordx4 v[0:3], v20, s[6:7]
	global_load_dwordx4 v[16:19], v20, s[6:7] offset:16
	global_load_dwordx4 v[12:15], v20, s[6:7] offset:32
	;; [unrolled: 1-line block ×4, first 2 shown]
	v_accvgpr_read_b32 v49, a1
	v_add_lshl_u32 v183, v49, v134, 3
	ds_read2_b64 v[24:27], v183 offset0:170 offset1:255
	ds_read2_b64 v[20:23], v183 offset1:85
	v_add_u32_e32 v36, 0xc00, v183
	v_add_u32_e32 v132, 0x800, v183
	;; [unrolled: 1-line block ×3, first 2 shown]
	ds_read_b64 v[28:29], v183 offset:6800
	ds_read2_b64 v[32:35], v132 offset0:84 offset1:169
	ds_read2_b64 v[36:39], v36 offset0:126 offset1:211
	;; [unrolled: 1-line block ×3, first 2 shown]
	v_mul_u32_u24_e32 v31, 0xbb, v31
	v_add_u32_sdwa v31, v31, v48 dst_sel:DWORD dst_unused:UNUSED_PAD src0_sel:DWORD src1_sel:BYTE_0
	v_add_lshl_u32 v184, v49, v31, 3
	s_mov_b32 s0, 0xbf0a6770
	s_mov_b32 s1, 0x3f575c64
	;; [unrolled: 1-line block ×20, first 2 shown]
	s_waitcnt lgkmcnt(0)
	s_barrier
	s_mov_b32 s36, s25
	s_mov_b32 s26, 0x3f7d64f0
	;; [unrolled: 1-line block ×10, first 2 shown]
	s_waitcnt vmcnt(4)
	v_pk_mul_f32 v[50:51], v[22:23], v[0:1] op_sel:[1,0] op_sel_hi:[0,1]
	v_mov_b32_e32 v48, v1
	v_mov_b32_e32 v50, v3
	s_waitcnt vmcnt(3)
	v_pk_mul_f32 v[56:57], v[26:27], v[16:17] op_sel:[0,1]
	v_mov_b32_e32 v60, v19
	s_waitcnt vmcnt(2)
	v_pk_mul_f32 v[62:63], v[34:35], v[12:13] op_sel:[0,1]
	;; [unrolled: 3-line block ×4, first 2 shown]
	v_mov_b32_e32 v72, v11
	v_pk_mul_f32 v[48:49], v[22:23], v[48:49] op_sel:[1,0] op_sel_hi:[0,1]
	v_mov_b32_e32 v74, v51
	v_pk_mul_f32 v[50:51], v[24:25], v[50:51] op_sel_hi:[1,0]
	v_pk_fma_f32 v[76:77], v[26:27], v[16:17], v[56:57] op_sel:[0,0,1] op_sel_hi:[1,1,0] neg_lo:[0,0,1] neg_hi:[0,0,1]
	v_pk_fma_f32 v[26:27], v[26:27], v[16:17], v[56:57] op_sel:[0,0,1] op_sel_hi:[1,0,0]
	v_pk_mul_f32 v[56:57], v[32:33], v[60:61] op_sel_hi:[1,0]
	v_pk_fma_f32 v[60:61], v[34:35], v[12:13], v[62:63] op_sel:[0,0,1] op_sel_hi:[1,1,0] neg_lo:[0,0,1] neg_hi:[0,0,1]
	v_pk_fma_f32 v[34:35], v[34:35], v[12:13], v[62:63] op_sel:[0,0,1] op_sel_hi:[1,0,0]
	;; [unrolled: 3-line block ×4, first 2 shown]
	v_pk_mul_f32 v[70:71], v[28:29], v[72:73] op_sel_hi:[1,0]
	v_pk_fma_f32 v[48:49], v[22:23], v[0:1], v[48:49] neg_lo:[0,0,1] neg_hi:[0,0,1]
	v_pk_fma_f32 v[72:73], v[22:23], v[0:1], v[74:75] op_sel:[1,0,0] op_sel_hi:[0,1,1]
	v_pk_fma_f32 v[74:75], v[24:25], v[2:3], v[50:51] op_sel:[0,0,1] op_sel_hi:[1,1,0] neg_lo:[0,0,1] neg_hi:[0,0,1]
	v_pk_fma_f32 v[22:23], v[24:25], v[2:3], v[50:51] op_sel:[0,0,1] op_sel_hi:[1,0,0]
	v_mov_b32_e32 v69, v43
	v_mov_b32_e32 v75, v23
	;; [unrolled: 1-line block ×4, first 2 shown]
	v_pk_add_f32 v[42:43], v[20:21], v[22:23]
	v_mov_b32_e32 v77, v27
	v_pk_fma_f32 v[24:25], v[32:33], v[18:19], v[56:57] op_sel:[0,0,1] op_sel_hi:[1,1,0] neg_lo:[0,0,1] neg_hi:[0,0,1]
	v_pk_fma_f32 v[26:27], v[32:33], v[18:19], v[56:57] op_sel:[0,0,1] op_sel_hi:[1,0,0]
	v_pk_add_f32 v[42:43], v[42:43], v[74:75]
	v_mov_b32_e32 v25, v27
	v_pk_add_f32 v[42:43], v[42:43], v[76:77]
	v_mov_b32_e32 v61, v35
	v_pk_fma_f32 v[32:33], v[36:37], v[14:15], v[62:63] op_sel:[0,0,1] op_sel_hi:[1,1,0] neg_lo:[0,0,1] neg_hi:[0,0,1]
	v_pk_fma_f32 v[34:35], v[36:37], v[14:15], v[62:63] op_sel:[0,0,1] op_sel_hi:[1,0,0]
	v_mov_b32_e32 v65, v39
	v_pk_fma_f32 v[36:37], v[40:41], v[6:7], v[66:67] op_sel:[0,0,1] op_sel_hi:[1,1,0] neg_lo:[0,0,1] neg_hi:[0,0,1]
	v_pk_fma_f32 v[38:39], v[40:41], v[6:7], v[66:67] op_sel:[0,0,1] op_sel_hi:[1,0,0]
	v_pk_fma_f32 v[40:41], v[28:29], v[10:11], v[70:71] op_sel:[0,0,1] op_sel_hi:[1,0,0] neg_lo:[0,0,1] neg_hi:[0,0,1]
	v_pk_fma_f32 v[28:29], v[28:29], v[10:11], v[70:71] op_sel:[0,0,1] op_sel_hi:[1,0,0]
	v_pk_add_f32 v[42:43], v[42:43], v[24:25]
	v_mov_b32_e32 v33, v35
	v_mov_b32_e32 v37, v39
	;; [unrolled: 1-line block ×3, first 2 shown]
	v_pk_add_f32 v[34:35], v[48:49], v[40:41]
	v_mov_b32_e32 v31, v72
	v_pk_add_f32 v[38:39], v[48:49], v[40:41] neg_lo:[0,1] neg_hi:[0,1]
	v_mov_b32_e32 v40, v29
	v_pk_add_f32 v[42:43], v[42:43], v[60:61]
	v_pk_add_f32 v[22:23], v[30:31], v[28:29]
	v_pk_add_f32 v[40:41], v[72:73], v[40:41] neg_lo:[0,1] neg_hi:[0,1]
	v_pk_add_f32 v[42:43], v[42:43], v[32:33]
	v_mov_b32_e32 v35, v38
	v_pk_add_f32 v[42:43], v[42:43], v[64:65]
	v_mov_b32_e32 v22, v40
	v_pk_mul_f32 v[38:39], v[34:35], s[28:29]
	v_pk_add_f32 v[50:51], v[76:77], v[36:37]
	v_pk_add_f32 v[56:57], v[76:77], v[36:37] neg_lo:[0,1] neg_hi:[0,1]
	v_pk_add_f32 v[62:63], v[24:25], v[64:65]
	v_pk_add_f32 v[36:37], v[42:43], v[36:37]
	v_pk_add_f32 v[42:43], v[24:25], v[64:65] neg_lo:[0,1] neg_hi:[0,1]
	v_pk_add_f32 v[64:65], v[60:61], v[32:33]
	v_pk_add_f32 v[32:33], v[60:61], v[32:33] neg_lo:[0,1] neg_hi:[0,1]
	v_pk_fma_f32 v[24:25], v[40:41], s[0:1], v[38:39] neg_lo:[1,0,0] neg_hi:[1,0,0]
	v_pk_fma_f32 v[60:61], v[22:23], s[0:1], v[38:39]
	v_mov_b32_e32 v27, v29
	v_pk_add_f32 v[48:49], v[74:75], v[68:69]
	v_pk_add_f32 v[28:29], v[74:75], v[68:69] neg_lo:[0,1] neg_hi:[0,1]
	v_pk_add_f32 v[36:37], v[36:37], v[68:69]
	v_mov_b32_e32 v25, v61
	v_pk_add_f32 v[36:37], v[36:37], v[26:27]
	v_pk_add_f32 v[26:27], v[20:21], v[24:25]
	v_mov_b32_e32 v25, v49
	v_mov_b32_e32 v49, v28
	;; [unrolled: 1-line block ×3, first 2 shown]
	v_pk_mul_f32 v[28:29], v[48:49], s[20:21]
	v_pk_fma_f32 v[38:39], v[22:23], s[0:1], v[38:39] neg_lo:[0,0,1] neg_hi:[0,0,1]
	v_pk_fma_f32 v[66:67], v[24:25], s[2:3], v[28:29] neg_lo:[1,0,0] neg_hi:[1,0,0]
	v_pk_fma_f32 v[68:69], v[24:25], s[2:3], v[28:29]
	v_mov_b32_e32 v61, v39
	v_mov_b32_e32 v67, v69
	v_pk_add_f32 v[66:67], v[66:67], v[26:27]
	v_mov_b32_e32 v27, v51
	v_mov_b32_e32 v51, v56
	v_pk_fma_f32 v[28:29], v[24:25], s[2:3], v[28:29] neg_lo:[0,0,1] neg_hi:[0,0,1]
	v_mov_b32_e32 v26, v57
	v_pk_mul_f32 v[56:57], v[50:51], s[22:23]
	v_pk_add_f32 v[38:39], v[20:21], v[60:61]
	v_mov_b32_e32 v69, v29
	v_pk_fma_f32 v[70:71], v[26:27], s[16:17], v[56:57] neg_lo:[1,0,0] neg_hi:[1,0,0]
	v_pk_fma_f32 v[72:73], v[26:27], s[16:17], v[56:57]
	v_pk_add_f32 v[28:29], v[68:69], v[38:39]
	v_pk_fma_f32 v[38:39], v[26:27], s[16:17], v[56:57] neg_lo:[0,0,1] neg_hi:[0,0,1]
	v_mov_b32_e32 v71, v73
	v_mov_b32_e32 v73, v39
	v_pk_add_f32 v[38:39], v[72:73], v[28:29]
	v_mov_b32_e32 v29, v63
	v_mov_b32_e32 v63, v42
	;; [unrolled: 1-line block ×3, first 2 shown]
	v_pk_mul_f32 v[42:43], v[62:63], s[34:35]
	v_pk_add_f32 v[66:67], v[70:71], v[66:67]
	v_pk_fma_f32 v[56:57], v[28:29], s[18:19], v[42:43] neg_lo:[1,0,0] neg_hi:[1,0,0]
	v_pk_fma_f32 v[60:61], v[28:29], s[18:19], v[42:43]
	v_pk_fma_f32 v[42:43], v[28:29], s[18:19], v[42:43] neg_lo:[0,0,1] neg_hi:[0,0,1]
	v_mov_b32_e32 v57, v61
	v_pk_add_f32 v[56:57], v[56:57], v[66:67]
	v_mov_b32_e32 v67, v65
	v_mov_b32_e32 v65, v32
	;; [unrolled: 1-line block ×3, first 2 shown]
	v_pk_mul_f32 v[32:33], v[64:65], s[38:39]
	v_mov_b32_e32 v61, v43
	v_pk_fma_f32 v[68:69], v[66:67], s[24:25], v[32:33] neg_lo:[1,0,0] neg_hi:[1,0,0]
	v_pk_fma_f32 v[70:71], v[66:67], s[24:25], v[32:33]
	v_pk_fma_f32 v[32:33], v[66:67], s[24:25], v[32:33] neg_lo:[0,0,1] neg_hi:[0,0,1]
	v_mov_b32_e32 v69, v71
	v_pk_add_f32 v[68:69], v[68:69], v[56:57]
	v_pk_add_f32 v[38:39], v[60:61], v[38:39]
	v_mov_b32_e32 v71, v33
	v_pk_mul_f32 v[32:33], v[34:35], s[20:21]
	v_pk_add_f32 v[56:57], v[70:71], v[38:39]
	ds_write2_b64 v184, v[36:37], v[68:69] offset1:17
	v_pk_fma_f32 v[36:37], v[40:41], s[2:3], v[32:33] neg_lo:[1,0,0] neg_hi:[1,0,0]
	v_pk_fma_f32 v[38:39], v[22:23], s[2:3], v[32:33]
	v_pk_mul_f32 v[42:43], v[48:49], s[34:35]
	v_mov_b32_e32 v37, v39
	v_pk_fma_f32 v[60:61], v[24:25], s[18:19], v[42:43] neg_lo:[1,0,0] neg_hi:[1,0,0]
	v_pk_fma_f32 v[68:69], v[24:25], s[18:19], v[42:43]
	s_mov_b32 s20, 0x3e903f40
	v_pk_add_f32 v[36:37], v[20:21], v[36:37]
	v_mov_b32_e32 v61, v69
	s_mov_b32 s37, s20
	v_pk_add_f32 v[36:37], v[60:61], v[36:37]
	s_mov_b32 s21, s25
	v_pk_mul_f32 v[60:61], v[50:51], s[36:37]
	v_pk_mul_f32 v[86:87], v[48:49], s[36:37]
	v_pk_fma_f32 v[70:71], v[26:27], s[20:21], v[60:61] neg_lo:[1,0,0] neg_hi:[1,0,0]
	v_pk_fma_f32 v[72:73], v[26:27], s[20:21], v[60:61]
	v_pk_fma_f32 v[88:89], v[24:25], s[20:21], v[86:87] neg_lo:[1,0,0] neg_hi:[1,0,0]
	v_mov_b32_e32 v71, v73
	v_pk_add_f32 v[36:37], v[70:71], v[36:37]
	v_pk_mul_f32 v[70:71], v[62:63], s[40:41]
	v_pk_fma_f32 v[90:91], v[24:25], s[20:21], v[86:87]
	v_pk_fma_f32 v[74:75], v[28:29], s[26:27], v[70:71] neg_lo:[1,0,0] neg_hi:[1,0,0]
	v_pk_fma_f32 v[76:77], v[28:29], s[26:27], v[70:71]
	s_mov_b32 s36, 0x3f68dda4
	v_mov_b32_e32 v75, v77
	v_pk_add_f32 v[36:37], v[74:75], v[36:37]
	v_pk_mul_f32 v[74:75], v[64:65], s[42:43]
	v_mov_b32_e32 v89, v91
	v_pk_fma_f32 v[78:79], v[66:67], s[30:31], v[74:75] neg_lo:[1,0,0] neg_hi:[1,0,0]
	v_pk_fma_f32 v[80:81], v[66:67], s[30:31], v[74:75]
	s_mov_b32 s45, s36
	v_mov_b32_e32 v79, v81
	v_pk_add_f32 v[36:37], v[78:79], v[36:37]
	v_pk_mul_f32 v[78:79], v[34:35], s[22:23]
	s_mov_b32 s37, s3
	v_pk_fma_f32 v[82:83], v[40:41], s[16:17], v[78:79] neg_lo:[1,0,0] neg_hi:[1,0,0]
	v_pk_fma_f32 v[84:85], v[22:23], s[16:17], v[78:79]
	v_pk_mul_f32 v[104:105], v[48:49], s[40:41]
	v_mov_b32_e32 v83, v85
	v_pk_add_f32 v[82:83], v[20:21], v[82:83]
	v_pk_fma_f32 v[106:107], v[24:25], s[26:27], v[104:105] neg_lo:[1,0,0] neg_hi:[1,0,0]
	v_pk_add_f32 v[82:83], v[88:89], v[82:83]
	v_pk_mul_f32 v[88:89], v[50:51], s[44:45]
	v_pk_fma_f32 v[108:109], v[24:25], s[26:27], v[104:105]
	v_pk_fma_f32 v[92:93], v[26:27], s[36:37], v[88:89] neg_lo:[1,0,0] neg_hi:[1,0,0]
	v_pk_fma_f32 v[94:95], v[26:27], s[36:37], v[88:89]
	v_mov_b32_e32 v107, v109
	v_mov_b32_e32 v93, v95
	v_pk_add_f32 v[82:83], v[92:93], v[82:83]
	v_pk_mul_f32 v[92:93], v[62:63], s[28:29]
	v_pk_mul_f32 v[48:49], v[48:49], s[42:43]
	v_pk_fma_f32 v[96:97], v[28:29], s[0:1], v[92:93] neg_lo:[1,0,0] neg_hi:[1,0,0]
	v_pk_fma_f32 v[98:99], v[28:29], s[0:1], v[92:93]
	v_pk_fma_f32 v[122:123], v[24:25], s[30:31], v[48:49] neg_lo:[1,0,0] neg_hi:[1,0,0]
	v_mov_b32_e32 v97, v99
	v_pk_add_f32 v[82:83], v[96:97], v[82:83]
	v_pk_mul_f32 v[96:97], v[64:65], s[34:35]
	v_pk_fma_f32 v[124:125], v[24:25], s[30:31], v[48:49]
	v_pk_fma_f32 v[100:101], v[66:67], s[18:19], v[96:97] neg_lo:[1,0,0] neg_hi:[1,0,0]
	v_pk_fma_f32 v[102:103], v[66:67], s[18:19], v[96:97]
	v_mov_b32_e32 v123, v125
	v_mov_b32_e32 v101, v103
	v_pk_add_f32 v[82:83], v[100:101], v[82:83]
	ds_write2_b64 v184, v[36:37], v[82:83] offset0:34 offset1:51
	v_pk_mul_f32 v[36:37], v[34:35], s[34:35]
	v_pk_mul_f32 v[34:35], v[34:35], s[38:39]
	v_pk_fma_f32 v[82:83], v[40:41], s[18:19], v[36:37] neg_lo:[1,0,0] neg_hi:[1,0,0]
	v_pk_fma_f32 v[100:101], v[22:23], s[18:19], v[36:37]
	v_pk_fma_f32 v[40:41], v[40:41], s[24:25], v[34:35] neg_lo:[1,0,0] neg_hi:[1,0,0]
	v_mov_b32_e32 v83, v101
	v_pk_add_f32 v[82:83], v[20:21], v[82:83]
	v_pk_fma_f32 v[36:37], v[22:23], s[18:19], v[36:37] neg_lo:[0,0,1] neg_hi:[0,0,1]
	v_pk_add_f32 v[82:83], v[106:107], v[82:83]
	v_pk_mul_f32 v[106:107], v[50:51], s[28:29]
	v_pk_mul_f32 v[50:51], v[50:51], s[34:35]
	v_pk_fma_f32 v[110:111], v[26:27], s[0:1], v[106:107] neg_lo:[1,0,0] neg_hi:[1,0,0]
	v_pk_fma_f32 v[112:113], v[26:27], s[0:1], v[106:107]
	v_pk_fma_f32 v[126:127], v[26:27], s[18:19], v[50:51]
	v_mov_b32_e32 v111, v113
	v_pk_add_f32 v[82:83], v[110:111], v[82:83]
	v_pk_mul_f32 v[110:111], v[62:63], s[38:39]
	v_pk_mul_f32 v[62:63], v[62:63], s[44:45]
	v_pk_fma_f32 v[114:115], v[28:29], s[24:25], v[110:111] neg_lo:[1,0,0] neg_hi:[1,0,0]
	v_pk_fma_f32 v[116:117], v[28:29], s[24:25], v[110:111]
	v_pk_fma_f32 v[128:129], v[28:29], s[36:37], v[62:63]
	v_mov_b32_e32 v115, v117
	;; [unrolled: 7-line block ×3, first 2 shown]
	v_pk_add_f32 v[82:83], v[118:119], v[82:83]
	v_pk_fma_f32 v[118:119], v[22:23], s[24:25], v[34:35]
	v_pk_fma_f32 v[34:35], v[22:23], s[24:25], v[34:35] neg_lo:[0,0,1] neg_hi:[0,0,1]
	v_mov_b32_e32 v41, v119
	v_pk_add_f32 v[40:41], v[20:21], v[40:41]
	v_mov_b32_e32 v119, v35
	v_pk_add_f32 v[40:41], v[122:123], v[40:41]
	v_pk_fma_f32 v[122:123], v[26:27], s[18:19], v[50:51] neg_lo:[1,0,0] neg_hi:[1,0,0]
	v_mov_b32_e32 v101, v37
	v_mov_b32_e32 v123, v127
	v_pk_add_f32 v[40:41], v[122:123], v[40:41]
	v_pk_fma_f32 v[122:123], v[28:29], s[36:37], v[62:63] neg_lo:[1,0,0] neg_hi:[1,0,0]
	v_pk_add_f32 v[34:35], v[20:21], v[118:119]
	v_mov_b32_e32 v123, v129
	v_pk_add_f32 v[40:41], v[122:123], v[40:41]
	v_pk_fma_f32 v[122:123], v[66:67], s[16:17], v[64:65] neg_lo:[1,0,0] neg_hi:[1,0,0]
	v_pk_add_f32 v[36:37], v[20:21], v[100:101]
	v_mov_b32_e32 v123, v131
	v_pk_add_f32 v[40:41], v[122:123], v[40:41]
	ds_write2_b64 v184, v[82:83], v[40:41] offset0:68 offset1:85
	v_pk_fma_f32 v[40:41], v[24:25], s[30:31], v[48:49] neg_lo:[0,0,1] neg_hi:[0,0,1]
	s_nop 0
	v_mov_b32_e32 v125, v41
	v_pk_fma_f32 v[40:41], v[26:27], s[18:19], v[50:51] neg_lo:[0,0,1] neg_hi:[0,0,1]
	v_pk_add_f32 v[34:35], v[124:125], v[34:35]
	v_mov_b32_e32 v127, v41
	v_pk_fma_f32 v[40:41], v[28:29], s[36:37], v[62:63] neg_lo:[0,0,1] neg_hi:[0,0,1]
	v_pk_add_f32 v[34:35], v[126:127], v[34:35]
	;; [unrolled: 3-line block ×7, first 2 shown]
	v_mov_b32_e32 v121, v41
	v_pk_add_f32 v[36:37], v[120:121], v[36:37]
	ds_write2_b64 v184, v[34:35], v[36:37] offset0:102 offset1:119
	v_pk_fma_f32 v[34:35], v[22:23], s[16:17], v[78:79] neg_lo:[0,0,1] neg_hi:[0,0,1]
	v_pk_fma_f32 v[22:23], v[22:23], s[2:3], v[32:33] neg_lo:[0,0,1] neg_hi:[0,0,1]
	v_mov_b32_e32 v85, v35
	v_pk_fma_f32 v[36:37], v[24:25], s[20:21], v[86:87] neg_lo:[0,0,1] neg_hi:[0,0,1]
	v_mov_b32_e32 v39, v23
	v_pk_fma_f32 v[22:23], v[24:25], s[18:19], v[42:43] neg_lo:[0,0,1] neg_hi:[0,0,1]
	v_pk_add_f32 v[34:35], v[20:21], v[84:85]
	v_mov_b32_e32 v91, v37
	v_pk_fma_f32 v[36:37], v[26:27], s[36:37], v[88:89] neg_lo:[0,0,1] neg_hi:[0,0,1]
	v_pk_add_f32 v[20:21], v[20:21], v[38:39]
	v_mov_b32_e32 v69, v23
	v_pk_fma_f32 v[22:23], v[26:27], s[20:21], v[60:61] neg_lo:[0,0,1] neg_hi:[0,0,1]
	v_pk_add_f32 v[34:35], v[90:91], v[34:35]
	v_mov_b32_e32 v95, v37
	v_pk_fma_f32 v[36:37], v[28:29], s[0:1], v[92:93] neg_lo:[0,0,1] neg_hi:[0,0,1]
	v_pk_add_f32 v[20:21], v[68:69], v[20:21]
	v_mov_b32_e32 v73, v23
	v_pk_fma_f32 v[22:23], v[28:29], s[26:27], v[70:71] neg_lo:[0,0,1] neg_hi:[0,0,1]
	v_pk_add_f32 v[34:35], v[94:95], v[34:35]
	v_mov_b32_e32 v99, v37
	v_pk_fma_f32 v[36:37], v[66:67], s[18:19], v[96:97] neg_lo:[0,0,1] neg_hi:[0,0,1]
	v_pk_add_f32 v[20:21], v[72:73], v[20:21]
	v_mov_b32_e32 v77, v23
	v_pk_fma_f32 v[22:23], v[66:67], s[30:31], v[74:75] neg_lo:[0,0,1] neg_hi:[0,0,1]
	v_pk_add_f32 v[34:35], v[98:99], v[34:35]
	v_mov_b32_e32 v103, v37
	v_pk_add_f32 v[20:21], v[76:77], v[20:21]
	v_mov_b32_e32 v81, v23
	v_pk_add_f32 v[34:35], v[102:103], v[34:35]
	v_pk_add_f32 v[20:21], v[80:81], v[20:21]
	ds_write2_b64 v184, v[34:35], v[20:21] offset0:136 offset1:153
	ds_write_b64 v184, v[56:57] offset:1360
	v_add_u32_e32 v20, 0x400, v183
	s_waitcnt lgkmcnt(0)
	s_barrier
	ds_read2_b64 v[66:69], v183 offset1:85
	ds_read2_b64 v[74:77], v20 offset0:59 offset1:144
	ds_read2_b64 v[48:51], v132 offset0:118 offset1:203
	ds_read2_b64 v[70:73], v30 offset0:49 offset1:134
	v_add_u32_e32 v21, 0x1400, v183
	ds_read2_b64 v[60:63], v21 offset0:108 offset1:193
	v_cmp_gt_u16_e64 s[2:3], 17, v134
	s_and_saveexec_b64 s[0:1], s[2:3]
	s_cbranch_execz .LBB0_9
; %bb.8:
	ds_read2_b64 v[56:59], v20 offset0:42 offset1:229
	ds_read2_b64 v[52:55], v30 offset0:32 offset1:219
	ds_read_b64 v[44:45], v183 offset:7344
.LBB0_9:
	s_or_b64 exec, exec, s[0:1]
	v_accvgpr_read_b32 v93, a3
	v_accvgpr_read_b32 v92, a2
	v_lshlrev_b32_e32 v20, 5, v92
	global_load_dwordx4 v[32:35], v20, s[6:7] offset:1360
	global_load_dwordx4 v[28:31], v20, s[6:7] offset:1376
	v_add_u32_e32 v20, 0xaa0, v20
	global_load_dwordx4 v[40:43], v20, s[6:7] offset:1360
	global_load_dwordx4 v[36:39], v20, s[6:7] offset:1376
	s_movk_i32 s18, 0xffef
	s_mov_b64 s[16:17], 0xaa
	s_mov_b32 s19, -1
	v_lshl_add_u64 v[20:21], v[92:93], 0, s[16:17]
	v_lshl_add_u64 v[22:23], v[92:93], 0, s[18:19]
	v_cndmask_b32_e64 v21, v23, v21, s[2:3]
	v_cndmask_b32_e64 v20, v22, v20, s[2:3]
	v_lshlrev_b64 v[20:21], 5, v[20:21]
	v_lshl_add_u64 v[64:65], s[6:7], 0, v[20:21]
	global_load_dwordx4 v[20:23], v[64:65], off offset:1376
	global_load_dwordx4 v[24:27], v[64:65], off offset:1360
	s_mov_b32 s0, 0x3f737871
	s_mov_b32 s16, 0x3f167918
	;; [unrolled: 1-line block ×3, first 2 shown]
	s_waitcnt vmcnt(5) lgkmcnt(3)
	v_pk_mul_f32 v[64:65], v[74:75], v[32:33] op_sel:[0,1]
	v_mov_b32_e32 v78, v35
	s_waitcnt vmcnt(4) lgkmcnt(1)
	v_pk_mul_f32 v[80:81], v[70:71], v[28:29] op_sel:[0,1]
	v_mov_b32_e32 v82, v31
	v_pk_fma_f32 v[84:85], v[74:75], v[32:33], v[64:65] op_sel:[0,0,1] op_sel_hi:[1,1,0] neg_lo:[0,0,1] neg_hi:[0,0,1]
	v_pk_fma_f32 v[64:65], v[74:75], v[32:33], v[64:65] op_sel:[0,0,1] op_sel_hi:[1,0,0]
	v_pk_mul_f32 v[74:75], v[48:49], v[78:79] op_sel_hi:[1,0]
	v_pk_fma_f32 v[78:79], v[70:71], v[28:29], v[80:81] op_sel:[0,0,1] op_sel_hi:[1,1,0] neg_lo:[0,0,1] neg_hi:[0,0,1]
	v_pk_fma_f32 v[70:71], v[70:71], v[28:29], v[80:81] op_sel:[0,0,1] op_sel_hi:[1,0,0]
	s_waitcnt lgkmcnt(0)
	v_pk_mul_f32 v[80:81], v[60:61], v[82:83] op_sel_hi:[1,0]
	s_waitcnt vmcnt(3)
	v_pk_mul_f32 v[82:83], v[76:77], v[40:41] op_sel:[0,1]
	v_mov_b32_e32 v64, v43
	s_waitcnt vmcnt(2)
	v_pk_mul_f32 v[86:87], v[72:73], v[36:37] op_sel:[0,1]
	v_mov_b32_e32 v70, v39
	v_mov_b32_e32 v85, v65
	v_pk_fma_f32 v[88:89], v[48:49], v[34:35], v[74:75] op_sel:[0,0,1] op_sel_hi:[1,1,0] neg_lo:[0,0,1] neg_hi:[0,0,1]
	v_pk_fma_f32 v[48:49], v[48:49], v[34:35], v[74:75] op_sel:[0,0,1] op_sel_hi:[1,0,0]
	v_mov_b32_e32 v79, v71
	v_pk_fma_f32 v[74:75], v[60:61], v[30:31], v[80:81] op_sel:[0,0,1] op_sel_hi:[1,1,0] neg_lo:[0,0,1] neg_hi:[0,0,1]
	v_pk_fma_f32 v[60:61], v[60:61], v[30:31], v[80:81] op_sel:[0,0,1] op_sel_hi:[1,0,0]
	v_pk_fma_f32 v[80:81], v[76:77], v[40:41], v[82:83] op_sel:[0,0,1] op_sel_hi:[1,1,0] neg_lo:[0,0,1] neg_hi:[0,0,1]
	v_pk_fma_f32 v[76:77], v[76:77], v[40:41], v[82:83] op_sel:[0,0,1] op_sel_hi:[1,0,0]
	v_pk_mul_f32 v[64:65], v[50:51], v[64:65] op_sel_hi:[1,0]
	v_pk_fma_f32 v[82:83], v[72:73], v[36:37], v[86:87] op_sel:[0,0,1] op_sel_hi:[1,1,0] neg_lo:[0,0,1] neg_hi:[0,0,1]
	v_pk_fma_f32 v[72:73], v[72:73], v[36:37], v[86:87] op_sel:[0,0,1] op_sel_hi:[1,0,0]
	v_pk_mul_f32 v[70:71], v[62:63], v[70:71] op_sel_hi:[1,0]
	v_mov_b32_e32 v89, v49
	v_mov_b32_e32 v75, v61
	;; [unrolled: 1-line block ×3, first 2 shown]
	v_pk_fma_f32 v[76:77], v[50:51], v[42:43], v[64:65] op_sel:[0,0,1] op_sel_hi:[1,1,0] neg_lo:[0,0,1] neg_hi:[0,0,1]
	v_pk_fma_f32 v[48:49], v[50:51], v[42:43], v[64:65] op_sel:[0,0,1] op_sel_hi:[1,0,0]
	v_mov_b32_e32 v83, v73
	v_pk_fma_f32 v[72:73], v[62:63], v[38:39], v[70:71] op_sel:[0,0,1] op_sel_hi:[1,1,0] neg_lo:[0,0,1] neg_hi:[0,0,1]
	v_pk_fma_f32 v[50:51], v[62:63], v[38:39], v[70:71] op_sel:[0,0,1] op_sel_hi:[1,0,0]
	v_pk_add_f32 v[60:61], v[66:67], v[84:85]
	v_mov_b32_e32 v77, v49
	v_mov_b32_e32 v73, v51
	v_pk_add_f32 v[48:49], v[60:61], v[88:89]
	v_pk_add_f32 v[50:51], v[88:89], v[78:79]
	;; [unrolled: 1-line block ×3, first 2 shown]
	v_pk_add_f32 v[60:61], v[84:85], v[74:75] neg_lo:[0,1] neg_hi:[0,1]
	v_pk_add_f32 v[62:63], v[88:89], v[78:79] neg_lo:[0,1] neg_hi:[0,1]
	v_pk_add_f32 v[48:49], v[48:49], v[78:79]
	v_pk_fma_f32 v[50:51], v[50:51], 0.5, v[66:67] op_sel_hi:[1,0,1] neg_lo:[1,0,0] neg_hi:[1,0,0]
	v_pk_fma_f32 v[66:67], v[86:87], 0.5, v[66:67] op_sel_hi:[1,0,1] neg_lo:[1,0,0] neg_hi:[1,0,0]
	v_pk_add_f32 v[64:65], v[84:85], v[88:89] neg_lo:[0,1] neg_hi:[0,1]
	v_pk_add_f32 v[70:71], v[74:75], v[78:79] neg_lo:[0,1] neg_hi:[0,1]
	;; [unrolled: 1-line block ×4, first 2 shown]
	v_pk_add_f32 v[48:49], v[48:49], v[74:75]
	v_pk_fma_f32 v[74:75], v[60:61], s[0:1], v[50:51] op_sel:[1,0,0] op_sel_hi:[0,0,1]
	v_pk_fma_f32 v[50:51], v[60:61], s[0:1], v[50:51] op_sel:[1,0,0] op_sel_hi:[0,0,1] neg_lo:[1,0,0] neg_hi:[1,0,0]
	v_pk_fma_f32 v[78:79], v[62:63], s[0:1], v[66:67] op_sel:[1,0,0] op_sel_hi:[0,0,1] neg_lo:[1,0,0] neg_hi:[1,0,0]
	v_pk_fma_f32 v[66:67], v[62:63], s[0:1], v[66:67] op_sel:[1,0,0] op_sel_hi:[0,0,1]
	v_pk_add_f32 v[64:65], v[64:65], v[70:71]
	v_pk_add_f32 v[70:71], v[84:85], v[88:89]
	v_pk_fma_f32 v[84:85], v[62:63], s[16:17], v[50:51] op_sel:[1,0,0] op_sel_hi:[0,0,1] neg_lo:[1,0,0] neg_hi:[1,0,0]
	v_pk_fma_f32 v[50:51], v[62:63], s[16:17], v[74:75] op_sel:[1,0,0] op_sel_hi:[0,0,1]
	v_pk_fma_f32 v[62:63], v[60:61], s[16:17], v[66:67] op_sel:[1,0,0] op_sel_hi:[0,0,1] neg_lo:[1,0,0] neg_hi:[1,0,0]
	v_pk_fma_f32 v[60:61], v[60:61], s[16:17], v[78:79] op_sel:[1,0,0] op_sel_hi:[0,0,1]
	v_mov_b32_e32 v74, v60
	v_mov_b32_e32 v75, v63
	;; [unrolled: 1-line block ×3, first 2 shown]
	v_pk_fma_f32 v[60:61], v[70:71], s[6:7], v[74:75] op_sel_hi:[1,0,1]
	v_pk_fma_f32 v[62:63], v[70:71], s[6:7], v[62:63] op_sel_hi:[1,0,1]
	v_pk_add_f32 v[70:71], v[80:81], v[76:77] neg_lo:[0,1] neg_hi:[0,1]
	v_pk_add_f32 v[74:75], v[72:73], v[82:83] neg_lo:[0,1] neg_hi:[0,1]
	v_mov_b32_e32 v66, v50
	v_pk_add_f32 v[74:75], v[70:71], v[74:75]
	s_waitcnt vmcnt(0)
	v_pk_mul_f32 v[70:71], v[58:59], v[24:25] op_sel:[1,0]
	v_mov_b32_e32 v67, v85
	v_pk_fma_f32 v[78:79], v[58:59], v[24:25], v[70:71] op_sel:[0,0,1] op_sel_hi:[1,1,0] neg_lo:[0,0,1] neg_hi:[0,0,1]
	v_pk_fma_f32 v[58:59], v[58:59], v[24:25], v[70:71] op_sel:[0,0,1] op_sel_hi:[0,1,0]
	v_mov_b32_e32 v85, v51
	v_mov_b32_e32 v79, v59
	v_pk_mul_f32 v[58:59], v[52:53], v[26:27] op_sel:[1,0]
	v_pk_fma_f32 v[50:51], v[64:65], s[6:7], v[66:67] op_sel_hi:[1,0,1]
	v_pk_fma_f32 v[64:65], v[64:65], s[6:7], v[84:85] op_sel_hi:[1,0,1]
	v_pk_fma_f32 v[84:85], v[52:53], v[26:27], v[58:59] op_sel:[0,0,1] op_sel_hi:[1,1,0] neg_lo:[0,0,1] neg_hi:[0,0,1]
	v_pk_fma_f32 v[52:53], v[52:53], v[26:27], v[58:59] op_sel:[0,0,1] op_sel_hi:[0,1,0]
	v_mov_b32_e32 v85, v53
	v_pk_mul_f32 v[52:53], v[54:55], v[20:21] op_sel:[1,0]
	v_pk_add_f32 v[66:67], v[68:69], v[80:81]
	v_pk_fma_f32 v[58:59], v[54:55], v[20:21], v[52:53] op_sel:[0,0,1] op_sel_hi:[1,1,0] neg_lo:[0,0,1] neg_hi:[0,0,1]
	v_pk_fma_f32 v[52:53], v[54:55], v[20:21], v[52:53] op_sel:[0,0,1] op_sel_hi:[0,1,0]
	v_mov_b32_e32 v59, v53
	v_pk_mul_f32 v[52:53], v[44:45], v[22:23] op_sel:[1,0]
	v_pk_add_f32 v[66:67], v[66:67], v[76:77]
	v_pk_fma_f32 v[54:55], v[44:45], v[22:23], v[52:53] op_sel:[0,0,1] op_sel_hi:[1,1,0] neg_lo:[0,0,1] neg_hi:[0,0,1]
	v_pk_fma_f32 v[44:45], v[44:45], v[22:23], v[52:53] op_sel:[0,0,1] op_sel_hi:[0,1,0]
	v_mov_b32_e32 v55, v45
	v_pk_add_f32 v[44:45], v[76:77], v[82:83]
	v_pk_add_f32 v[52:53], v[80:81], v[72:73] neg_lo:[0,1] neg_hi:[0,1]
	v_pk_fma_f32 v[44:45], v[44:45], 0.5, v[68:69] op_sel_hi:[1,0,1] neg_lo:[1,0,0] neg_hi:[1,0,0]
	v_pk_mul_f32 v[70:71], v[52:53], s[0:1] op_sel_hi:[1,0]
	v_pk_add_f32 v[66:67], v[66:67], v[82:83]
	v_pk_add_f32 v[86:87], v[44:45], v[70:71] op_sel:[0,1] op_sel_hi:[1,0] neg_lo:[0,1] neg_hi:[0,1]
	v_pk_add_f32 v[44:45], v[44:45], v[70:71] op_sel:[0,1] op_sel_hi:[1,0]
	v_pk_add_f32 v[70:71], v[80:81], v[72:73]
	v_pk_add_f32 v[66:67], v[66:67], v[72:73]
	v_pk_add_f32 v[88:89], v[76:77], v[82:83] neg_lo:[0,1] neg_hi:[0,1]
	v_pk_fma_f32 v[68:69], v[70:71], 0.5, v[68:69] op_sel_hi:[1,0,1] neg_lo:[1,0,0] neg_hi:[1,0,0]
	v_pk_add_f32 v[70:71], v[76:77], v[80:81] neg_lo:[0,1] neg_hi:[0,1]
	v_pk_add_f32 v[72:73], v[82:83], v[72:73] neg_lo:[0,1] neg_hi:[0,1]
	v_pk_mul_f32 v[52:53], v[52:53], s[16:17] op_sel_hi:[1,0]
	v_pk_add_f32 v[72:73], v[70:71], v[72:73]
	v_pk_mul_f32 v[70:71], v[88:89], s[0:1] op_sel_hi:[1,0]
	v_pk_mul_f32 v[90:91], v[88:89], s[16:17] op_sel_hi:[1,0]
	v_pk_add_f32 v[76:77], v[70:71], v[68:69] op_sel:[1,0] op_sel_hi:[0,1]
	v_pk_add_f32 v[68:69], v[68:69], v[70:71] op_sel:[0,1] op_sel_hi:[1,0] neg_lo:[0,1] neg_hi:[0,1]
	v_pk_add_f32 v[76:77], v[76:77], v[52:53] op_sel:[0,1] op_sel_hi:[1,0] neg_lo:[0,1] neg_hi:[0,1]
	v_pk_add_f32 v[52:53], v[52:53], v[68:69] op_sel:[1,0] op_sel_hi:[0,1]
	v_mov_b32_e32 v68, v52
	v_mov_b32_e32 v69, v77
	;; [unrolled: 1-line block ×3, first 2 shown]
	v_pk_add_f32 v[52:53], v[84:85], v[58:59]
	v_pk_fma_f32 v[70:71], v[72:73], s[6:7], v[68:69] op_sel_hi:[1,0,1]
	v_pk_fma_f32 v[72:73], v[72:73], s[6:7], v[76:77] op_sel_hi:[1,0,1]
	v_pk_fma_f32 v[52:53], v[52:53], 0.5, v[56:57] op_sel_hi:[1,0,1] neg_lo:[1,0,0] neg_hi:[1,0,0]
	v_pk_add_f32 v[76:77], v[78:79], v[54:55] neg_lo:[0,1] neg_hi:[0,1]
	v_pk_add_f32 v[86:87], v[86:87], v[90:91] op_sel:[0,1] op_sel_hi:[1,0] neg_lo:[0,1] neg_hi:[0,1]
	v_pk_add_f32 v[44:45], v[90:91], v[44:45] op_sel:[1,0] op_sel_hi:[0,1]
	v_pk_fma_f32 v[80:81], v[76:77], s[0:1], v[52:53] op_sel:[1,0,0] op_sel_hi:[0,0,1]
	v_pk_fma_f32 v[52:53], v[76:77], s[0:1], v[52:53] op_sel:[1,0,0] op_sel_hi:[0,0,1] neg_lo:[1,0,0] neg_hi:[1,0,0]
	v_pk_add_f32 v[82:83], v[84:85], v[58:59] neg_lo:[0,1] neg_hi:[0,1]
	v_mov_b32_e32 v90, v44
	v_mov_b32_e32 v91, v87
	;; [unrolled: 1-line block ×3, first 2 shown]
	v_pk_fma_f32 v[52:53], v[82:83], s[16:17], v[52:53] op_sel:[1,0,0] op_sel_hi:[0,0,1] neg_lo:[1,0,0] neg_hi:[1,0,0]
	v_pk_fma_f32 v[80:81], v[82:83], s[16:17], v[80:81] op_sel:[1,0,0] op_sel_hi:[0,0,1]
	v_pk_fma_f32 v[68:69], v[74:75], s[6:7], v[90:91] op_sel_hi:[1,0,1]
	v_pk_fma_f32 v[74:75], v[74:75], s[6:7], v[86:87] op_sel_hi:[1,0,1]
	v_mov_b32_e32 v86, v80
	v_mov_b32_e32 v87, v53
	;; [unrolled: 1-line block ×3, first 2 shown]
	v_pk_add_f32 v[80:81], v[78:79], v[54:55]
	v_pk_add_f32 v[44:45], v[56:57], v[78:79]
	v_pk_fma_f32 v[56:57], v[80:81], 0.5, v[56:57] op_sel_hi:[1,0,1] neg_lo:[1,0,0] neg_hi:[1,0,0]
	v_pk_add_f32 v[44:45], v[44:45], v[84:85]
	v_pk_add_f32 v[88:89], v[78:79], v[84:85] neg_lo:[0,1] neg_hi:[0,1]
	v_pk_add_f32 v[90:91], v[54:55], v[58:59] neg_lo:[0,1] neg_hi:[0,1]
	v_pk_fma_f32 v[80:81], v[82:83], s[0:1], v[56:57] op_sel:[1,0,0] op_sel_hi:[0,0,1] neg_lo:[1,0,0] neg_hi:[1,0,0]
	v_pk_fma_f32 v[56:57], v[82:83], s[0:1], v[56:57] op_sel:[1,0,0] op_sel_hi:[0,0,1]
	v_pk_add_f32 v[44:45], v[44:45], v[58:59]
	v_pk_add_f32 v[88:89], v[88:89], v[90:91]
	v_pk_fma_f32 v[56:57], v[76:77], s[16:17], v[56:57] op_sel:[1,0,0] op_sel_hi:[0,0,1] neg_lo:[1,0,0] neg_hi:[1,0,0]
	v_pk_fma_f32 v[76:77], v[76:77], s[16:17], v[80:81] op_sel:[1,0,0] op_sel_hi:[0,0,1]
	v_mov_b32_e32 v80, v76
	v_mov_b32_e32 v81, v57
	;; [unrolled: 1-line block ×3, first 2 shown]
	v_pk_add_f32 v[76:77], v[44:45], v[54:55]
	v_pk_fma_f32 v[44:45], v[88:89], s[6:7], v[52:53] op_sel_hi:[1,0,1]
	v_accvgpr_read_b32 v53, a5
	v_lshl_add_u32 v182, v92, 3, v53
	v_add_u32_e32 v52, 0x400, v182
	ds_write2_b64 v52, v[50:51], v[60:61] offset0:59 offset1:246
	v_add_u32_e32 v52, 0x1000, v182
	ds_write2_b64 v52, v[62:63], v[64:65] offset0:49 offset1:236
	v_accvgpr_read_b32 v52, a0
	v_pk_add_f32 v[78:79], v[84:85], v[78:79] neg_lo:[0,1] neg_hi:[0,1]
	v_pk_add_f32 v[58:59], v[58:59], v[54:55] neg_lo:[0,1] neg_hi:[0,1]
	v_add_u32_e32 v185, v52, v53
	v_pk_add_f32 v[58:59], v[78:79], v[58:59]
	v_add_u32_e32 v52, 0x800, v185
	v_pk_fma_f32 v[78:79], v[88:89], s[6:7], v[86:87] op_sel_hi:[1,0,1]
	v_pk_fma_f32 v[80:81], v[58:59], s[6:7], v[80:81] op_sel_hi:[1,0,1]
	;; [unrolled: 1-line block ×3, first 2 shown]
	ds_write2_b64 v182, v[48:49], v[66:67] offset1:85
	ds_write2_b64 v52, v[68:69], v[70:71] offset0:16 offset1:203
	v_add_u32_e32 v52, 0x1400, v185
	ds_write2_b64 v52, v[72:73], v[74:75] offset0:6 offset1:193
	s_mov_b64 s[0:1], exec
	v_accvgpr_read_b32 v191, a7
	s_and_b64 s[6:7], s[0:1], s[2:3]
	v_accvgpr_read_b32 v190, a6
	s_mov_b64 exec, s[6:7]
	s_cbranch_execz .LBB0_11
; %bb.10:
	v_add_u32_e32 v52, 0x400, v182
	ds_write2_b64 v52, v[76:77], v[78:79] offset0:42 offset1:229
	v_add_u32_e32 v52, 0x1000, v182
	ds_write2_b64 v52, v[80:81], v[82:83] offset0:32 offset1:219
	ds_write_b64 v182, v[44:45] offset:7344
.LBB0_11:
	s_or_b64 exec, exec, s[0:1]
	s_waitcnt lgkmcnt(0)
	s_barrier
	s_and_saveexec_b64 s[0:1], s[4:5]
	s_cbranch_execz .LBB0_13
; %bb.12:
	v_accvgpr_read_b32 v52, a0
	v_mov_b32_e32 v53, 0
	v_lshl_add_u64 v[52:53], s[12:13], 0, v[52:53]
	s_mov_b64 s[6:7], 0x1d38
	v_add_co_u32_e32 v56, vcc, 0x1000, v52
	v_lshl_add_u64 v[54:55], v[52:53], 0, s[6:7]
	s_nop 0
	v_addc_co_u32_e32 v57, vcc, 0, v53, vcc
	global_load_dwordx2 v[100:101], v[54:55], off offset:440
	global_load_dwordx2 v[102:103], v[54:55], off offset:880
	;; [unrolled: 1-line block ×9, first 2 shown]
	s_movk_i32 s6, 0x2000
	v_add_co_u32_e32 v56, vcc, s6, v52
	s_movk_i32 s7, 0x3000
	s_nop 0
	v_addc_co_u32_e32 v57, vcc, 0, v53, vcc
	v_add_co_u32_e32 v88, vcc, s7, v52
	v_add_u32_e32 v136, 0x400, v182
	s_nop 0
	v_addc_co_u32_e32 v89, vcc, 0, v53, vcc
	global_load_dwordx2 v[118:119], v[56:57], off offset:3688
	global_load_dwordx2 v[120:121], v[88:89], off offset:32
	;; [unrolled: 1-line block ×8, first 2 shown]
	ds_read2_b64 v[52:55], v182 offset1:55
	ds_read2_b64 v[56:59], v182 offset0:110 offset1:165
	v_add_u32_e32 v137, 0x800, v182
	ds_read2_b64 v[84:87], v136 offset0:92 offset1:147
	v_add_u32_e32 v138, 0x1000, v182
	ds_read2_b64 v[88:91], v137 offset0:74 offset1:129
	ds_read2_b64 v[92:95], v137 offset0:184 offset1:239
	;; [unrolled: 1-line block ×3, first 2 shown]
	s_waitcnt vmcnt(16) lgkmcnt(5)
	v_mul_f32_e32 v134, v55, v101
	v_mul_f32_e32 v135, v54, v101
	s_waitcnt vmcnt(15) lgkmcnt(4)
	v_mul_f32_e32 v139, v57, v103
	v_mul_f32_e32 v101, v56, v103
	s_waitcnt vmcnt(14)
	v_mul_f32_e32 v140, v59, v105
	v_mul_f32_e32 v103, v58, v105
	s_waitcnt vmcnt(13) lgkmcnt(3)
	v_mul_f32_e32 v141, v85, v107
	v_mul_f32_e32 v105, v84, v107
	s_waitcnt vmcnt(12)
	v_mul_f32_e32 v142, v87, v109
	v_mul_f32_e32 v107, v86, v109
	s_waitcnt vmcnt(11) lgkmcnt(2)
	v_mul_f32_e32 v143, v89, v111
	v_mul_f32_e32 v109, v88, v111
	s_waitcnt vmcnt(10)
	v_mul_f32_e32 v144, v91, v113
	v_mul_f32_e32 v111, v90, v113
	s_waitcnt vmcnt(9) lgkmcnt(1)
	v_mul_f32_e32 v145, v93, v115
	v_mul_f32_e32 v113, v92, v115
	s_waitcnt vmcnt(8)
	v_mul_f32_e32 v115, v52, v117
	v_mul_f32_e32 v146, v53, v117
	v_fma_f32 v134, v54, v100, -v134
	s_waitcnt vmcnt(5)
	v_mul_f32_e32 v54, v95, v123
	v_fmac_f32_e32 v115, v53, v116
	v_mul_f32_e32 v53, v94, v123
	v_fmac_f32_e32 v135, v55, v100
	v_fma_f32 v100, v56, v102, -v139
	v_fmac_f32_e32 v101, v57, v102
	v_fma_f32 v102, v58, v104, -v140
	;; [unrolled: 2-line block ×8, first 2 shown]
	v_fma_f32 v52, v94, v122, -v54
	v_fmac_f32_e32 v53, v95, v122
	ds_write2_b64 v182, v[100:101], v[102:103] offset0:110 offset1:165
	ds_write2_b64 v136, v[104:105], v[106:107] offset0:92 offset1:147
	;; [unrolled: 1-line block ×3, first 2 shown]
	ds_write2_b64 v182, v[114:115], v[134:135] offset1:55
	ds_write2_b64 v137, v[112:113], v[52:53] offset0:184 offset1:239
	s_waitcnt lgkmcnt(5)
	v_mul_f32_e32 v52, v97, v119
	v_fma_f32 v56, v96, v118, -v52
	ds_read2_b64 v[52:55], v138 offset0:148 offset1:203
	v_mul_f32_e32 v57, v96, v119
	v_mul_f32_e32 v58, v99, v121
	;; [unrolled: 1-line block ×3, first 2 shown]
	v_fmac_f32_e32 v57, v97, v118
	v_fma_f32 v58, v98, v120, -v58
	v_fmac_f32_e32 v59, v99, v120
	ds_write2_b64 v138, v[56:57], v[58:59] offset0:38 offset1:93
	s_waitcnt vmcnt(4) lgkmcnt(1)
	v_mul_f32_e32 v56, v53, v125
	v_add_u32_e32 v86, 0x1800, v182
	v_fma_f32 v84, v52, v124, -v56
	ds_read2_b64 v[56:59], v86 offset0:2 offset1:57
	v_mul_f32_e32 v85, v52, v125
	v_fmac_f32_e32 v85, v53, v124
	s_waitcnt vmcnt(3)
	v_mul_f32_e32 v52, v55, v127
	v_mul_f32_e32 v53, v54, v127
	v_fma_f32 v52, v54, v126, -v52
	v_fmac_f32_e32 v53, v55, v126
	ds_read_b64 v[54:55], v182 offset:7040
	ds_write2_b64 v138, v[84:85], v[52:53] offset0:148 offset1:203
	s_waitcnt vmcnt(2) lgkmcnt(2)
	v_mul_f32_e32 v52, v57, v129
	v_mul_f32_e32 v53, v56, v129
	v_fma_f32 v52, v56, v128, -v52
	v_fmac_f32_e32 v53, v57, v128
	s_waitcnt vmcnt(1)
	v_mul_f32_e32 v56, v59, v131
	v_mul_f32_e32 v57, v58, v131
	v_fma_f32 v56, v58, v130, -v56
	v_fmac_f32_e32 v57, v59, v130
	ds_write2_b64 v86, v[52:53], v[56:57] offset0:2 offset1:57
	s_waitcnt vmcnt(0) lgkmcnt(2)
	v_mul_f32_e32 v52, v55, v133
	v_mul_f32_e32 v53, v54, v133
	v_fma_f32 v52, v54, v132, -v52
	v_fmac_f32_e32 v53, v55, v132
	ds_write_b64 v182, v[52:53] offset:7040
.LBB0_13:
	s_or_b64 exec, exec, s[0:1]
	s_waitcnt lgkmcnt(0)
	s_barrier
	s_and_saveexec_b64 s[0:1], s[4:5]
	s_cbranch_execz .LBB0_15
; %bb.14:
	v_add_u32_e32 v44, 0x400, v182
	ds_read2_b64 v[48:51], v182 offset1:55
	ds_read2_b64 v[60:63], v182 offset0:110 offset1:165
	ds_read2_b64 v[64:67], v44 offset0:92 offset1:147
	v_add_u32_e32 v44, 0x800, v182
	ds_read2_b64 v[68:71], v44 offset0:74 offset1:129
	ds_read2_b64 v[72:75], v44 offset0:184 offset1:239
	v_add_u32_e32 v44, 0x1000, v182
	;; [unrolled: 3-line block ×3, first 2 shown]
	ds_read2_b64 v[44:47], v44 offset0:2 offset1:57
	ds_read_b64 v[190:191], v182 offset:7040
.LBB0_15:
	s_or_b64 exec, exec, s[0:1]
	s_waitcnt lgkmcnt(1)
	v_pk_add_f32 v[52:53], v[60:61], v[46:47] neg_lo:[0,1] neg_hi:[0,1]
	v_pk_add_f32 v[136:137], v[60:61], v[46:47]
	v_mov_b32_e32 v111, v52
	v_mov_b32_e32 v110, v136
	v_mov_b32_e32 v136, v53
	v_pk_add_f32 v[52:53], v[62:63], v[44:45] neg_lo:[0,1] neg_hi:[0,1]
	v_pk_add_f32 v[134:135], v[62:63], v[44:45]
	v_mov_b32_e32 v113, v52
	v_mov_b32_e32 v112, v134
	v_mov_b32_e32 v134, v53
	;; [unrolled: 5-line block ×3, first 2 shown]
	v_pk_add_f32 v[52:53], v[66:67], v[80:81] neg_lo:[0,1] neg_hi:[0,1]
	v_pk_add_f32 v[130:131], v[66:67], v[80:81]
	s_waitcnt lgkmcnt(0)
	v_pk_add_f32 v[138:139], v[190:191], v[50:51]
	v_pk_add_f32 v[216:217], v[50:51], v[190:191] neg_lo:[0,1] neg_hi:[0,1]
	v_mov_b32_e32 v116, v130
	v_mov_b32_e32 v117, v52
	;; [unrolled: 1-line block ×3, first 2 shown]
	v_pk_add_f32 v[52:53], v[68:69], v[78:79] neg_lo:[0,1] neg_hi:[0,1]
	v_pk_add_f32 v[128:129], v[68:69], v[78:79]
	s_mov_b32 s72, 0xbf65296c
	v_mov_b32_e32 v118, v128
	v_mov_b32_e32 v119, v52
	;; [unrolled: 1-line block ×3, first 2 shown]
	v_pk_add_f32 v[52:53], v[70:71], v[76:77] neg_lo:[0,1] neg_hi:[0,1]
	v_pk_add_f32 v[126:127], v[70:71], v[76:77]
	v_mov_b32_e32 v58, v217
	v_mov_b32_e32 v59, v139
	s_mov_b32 s73, 0x3ee437d1
	s_mov_b32 s34, 0xbf4c4adb
	v_mov_b32_e32 v120, v126
	v_mov_b32_e32 v121, v52
	;; [unrolled: 1-line block ×3, first 2 shown]
	v_pk_add_f32 v[52:53], v[72:73], v[74:75] neg_lo:[0,1] neg_hi:[0,1]
	v_pk_add_f32 v[124:125], v[72:73], v[74:75]
	v_pk_mul_f32 v[54:55], v[58:59], s[72:73]
	v_mov_b32_e32 v142, v138
	v_mov_b32_e32 v143, v216
	s_mov_b32 s0, s73
	s_mov_b32 s1, s72
	;; [unrolled: 1-line block ×3, first 2 shown]
	v_mov_b32_e32 v122, v124
	v_mov_b32_e32 v123, v52
	;; [unrolled: 1-line block ×3, first 2 shown]
	v_pk_fma_f32 v[52:53], v[142:143], s[0:1], v[54:55] neg_lo:[0,0,1] neg_hi:[0,0,1]
	v_accvgpr_write_b32 a6, v54
	v_pk_fma_f32 v[144:145], v[142:143], s[0:1], v[54:55]
	v_pk_mul_f32 v[84:85], v[136:137], s[34:35]
	s_mov_b32 s6, s35
	s_mov_b32 s7, s34
	;; [unrolled: 1-line block ×3, first 2 shown]
	v_accvgpr_write_b32 a7, v55
	v_mov_b32_e32 v53, v145
	v_pk_fma_f32 v[54:55], v[110:111], s[6:7], v[84:85] neg_lo:[0,0,1] neg_hi:[0,0,1]
	v_accvgpr_write_b32 a40, v84
	v_pk_fma_f32 v[162:163], v[110:111], s[6:7], v[84:85]
	s_mov_b32 s16, 0x3e3c28d5
	s_mov_b32 s17, s36
	v_pk_add_f32 v[52:53], v[48:49], v[52:53]
	v_accvgpr_write_b32 a41, v85
	v_mov_b32_e32 v55, v163
	v_pk_mul_f32 v[84:85], v[134:135], s[16:17]
	s_mov_b32 s37, s16
	s_mov_b32 s70, 0x3f763a35
	v_pk_add_f32 v[52:53], v[54:55], v[52:53]
	v_pk_fma_f32 v[54:55], v[112:113], s[36:37], v[84:85] neg_lo:[0,0,1] neg_hi:[0,0,1]
	v_pk_fma_f32 v[172:173], v[112:113], s[36:37], v[84:85]
	s_mov_b32 s71, 0xbe8c1d8e
	v_mov_b32_e32 v55, v173
	v_pk_mul_f32 v[196:197], v[132:133], s[70:71]
	s_mov_b32 s16, s71
	s_mov_b32 s17, s70
	s_mov_b32 s40, 0x3f2c7751
	v_pk_add_f32 v[52:53], v[54:55], v[52:53]
	v_pk_fma_f32 v[54:55], v[114:115], s[16:17], v[196:197] neg_lo:[0,0,1] neg_hi:[0,0,1]
	v_pk_fma_f32 v[188:189], v[114:115], s[16:17], v[196:197]
	s_mov_b32 s41, 0x3f3d2fb0
	v_mov_b32_e32 v55, v189
	v_pk_mul_f32 v[210:211], v[130:131], s[40:41]
	s_mov_b32 s24, s41
	;; [unrolled: 9-line block ×5, first 2 shown]
	s_mov_b32 s21, s44
	v_pk_add_f32 v[52:53], v[54:55], v[52:53]
	v_pk_fma_f32 v[54:55], v[122:123], s[20:21], v[232:233] neg_lo:[0,0,1] neg_hi:[0,0,1]
	v_pk_fma_f32 v[226:227], v[122:123], s[20:21], v[232:233]
	v_accvgpr_write_b32 a44, v84
	v_mov_b32_e32 v55, v227
	v_pk_add_f32 v[198:199], v[54:55], v[52:53]
	v_pk_mul_f32 v[54:55], v[58:59], s[58:59]
	s_mov_b32 s52, 0xbe3c28d5
	s_mov_b32 s53, s36
	v_accvgpr_write_b32 a45, v85
	v_pk_fma_f32 v[52:53], v[142:143], s[18:19], v[54:55] neg_lo:[0,0,1] neg_hi:[0,0,1]
	v_accvgpr_write_b32 a46, v54
	v_pk_fma_f32 v[146:147], v[142:143], s[18:19], v[54:55]
	v_pk_mul_f32 v[84:85], v[136:137], s[52:53]
	s_mov_b32 s22, s36
	s_mov_b32 s23, s52
	v_accvgpr_write_b32 a47, v55
	v_mov_b32_e32 v53, v147
	v_pk_fma_f32 v[54:55], v[110:111], s[22:23], v[84:85] neg_lo:[0,0,1] neg_hi:[0,0,1]
	v_accvgpr_write_b32 a50, v84
	v_pk_fma_f32 v[170:171], v[110:111], s[22:23], v[84:85]
	v_pk_add_f32 v[52:53], v[48:49], v[52:53]
	v_accvgpr_write_b32 a51, v85
	v_mov_b32_e32 v55, v171
	v_pk_mul_f32 v[84:85], v[134:135], s[70:71]
	v_pk_add_f32 v[52:53], v[54:55], v[52:53]
	v_pk_fma_f32 v[54:55], v[112:113], s[16:17], v[84:85] neg_lo:[0,0,1] neg_hi:[0,0,1]
	v_accvgpr_write_b32 a42, v84
	v_pk_fma_f32 v[168:169], v[112:113], s[16:17], v[84:85]
	s_mov_b32 s54, 0x3eb8f4ab
	s_mov_b32 s55, s51
	v_accvgpr_write_b32 a43, v85
	v_mov_b32_e32 v55, v169
	v_pk_mul_f32 v[84:85], v[132:133], s[54:55]
	s_mov_b32 s26, s51
	s_mov_b32 s27, s54
	v_pk_add_f32 v[52:53], v[54:55], v[52:53]
	v_pk_fma_f32 v[54:55], v[114:115], s[26:27], v[84:85] neg_lo:[0,0,1] neg_hi:[0,0,1]
	v_accvgpr_write_b32 a54, v84
	v_pk_fma_f32 v[206:207], v[114:115], s[26:27], v[84:85]
	v_accvgpr_write_b32 a55, v85
	v_mov_b32_e32 v55, v207
	v_pk_mul_f32 v[84:85], v[130:131], s[72:73]
	v_pk_add_f32 v[52:53], v[54:55], v[52:53]
	v_pk_fma_f32 v[54:55], v[116:117], s[0:1], v[84:85] neg_lo:[0,0,1] neg_hi:[0,0,1]
	v_pk_fma_f32 v[212:213], v[116:117], s[0:1], v[84:85]
	v_pk_mul_f32 v[222:223], v[128:129], s[44:45]
	v_mov_b32_e32 v55, v213
	v_pk_add_f32 v[52:53], v[54:55], v[52:53]
	v_pk_fma_f32 v[54:55], v[118:119], s[20:21], v[222:223] neg_lo:[0,0,1] neg_hi:[0,0,1]
	v_pk_fma_f32 v[218:219], v[118:119], s[20:21], v[222:223]
	s_mov_b32 s66, 0x3f4c4adb
	s_mov_b32 s67, s35
	v_mov_b32_e32 v55, v219
	v_pk_mul_f32 v[230:231], v[126:127], s[66:67]
	s_mov_b32 s42, s35
	s_mov_b32 s43, s66
	v_pk_add_f32 v[52:53], v[54:55], v[52:53]
	v_pk_fma_f32 v[54:55], v[120:121], s[42:43], v[230:231] neg_lo:[0,0,1] neg_hi:[0,0,1]
	v_pk_fma_f32 v[234:235], v[120:121], s[42:43], v[230:231]
	v_pk_mul_f32 v[238:239], v[124:125], s[40:41]
	v_mov_b32_e32 v55, v235
	v_pk_add_f32 v[52:53], v[54:55], v[52:53]
	v_pk_fma_f32 v[54:55], v[122:123], s[24:25], v[238:239] neg_lo:[0,0,1] neg_hi:[0,0,1]
	v_pk_fma_f32 v[236:237], v[122:123], s[24:25], v[238:239]
	s_mov_b32 s60, 0xbf763a35
	s_mov_b32 s61, s71
	v_mov_b32_e32 v55, v237
	v_pk_mul_f32 v[240:241], v[58:59], s[60:61]
	s_mov_b32 s30, s71
	s_mov_b32 s31, s60
	;; [unrolled: 1-line block ×4, first 2 shown]
	v_accvgpr_write_b32 a58, v84
	v_pk_add_f32 v[54:55], v[54:55], v[52:53]
	v_pk_fma_f32 v[52:53], v[142:143], s[30:31], v[240:241] neg_lo:[0,0,1] neg_hi:[0,0,1]
	v_pk_fma_f32 v[242:243], v[142:143], s[30:31], v[240:241]
	v_pk_mul_f32 v[244:245], v[136:137], s[74:75]
	s_mov_b32 s38, s45
	s_mov_b32 s39, s74
	v_accvgpr_write_b32 a59, v85
	v_mov_b32_e32 v53, v243
	v_pk_fma_f32 v[84:85], v[110:111], s[38:39], v[244:245] neg_lo:[0,0,1] neg_hi:[0,0,1]
	v_pk_fma_f32 v[246:247], v[110:111], s[38:39], v[244:245]
	v_pk_add_f32 v[52:53], v[48:49], v[52:53]
	v_mov_b32_e32 v85, v247
	v_pk_mul_f32 v[250:251], v[134:135], s[40:41]
	v_pk_add_f32 v[52:53], v[84:85], v[52:53]
	v_pk_fma_f32 v[84:85], v[112:113], s[24:25], v[250:251] neg_lo:[0,0,1] neg_hi:[0,0,1]
	v_pk_fma_f32 v[248:249], v[112:113], s[24:25], v[250:251]
	v_pk_mul_f32 v[254:255], v[132:133], s[72:73]
	v_mov_b32_e32 v85, v249
	v_pk_add_f32 v[52:53], v[84:85], v[52:53]
	v_pk_fma_f32 v[84:85], v[114:115], s[0:1], v[254:255] neg_lo:[0,0,1] neg_hi:[0,0,1]
	v_pk_fma_f32 v[252:253], v[114:115], s[0:1], v[254:255]
	v_pk_mul_f32 v[154:155], v[130:131], s[52:53]
	v_mov_b32_e32 v85, v253
	v_pk_add_f32 v[52:53], v[84:85], v[52:53]
	v_pk_fma_f32 v[84:85], v[116:117], s[22:23], v[154:155] neg_lo:[0,0,1] neg_hi:[0,0,1]
	v_pk_fma_f32 v[148:149], v[116:117], s[22:23], v[154:155]
	s_mov_b32 s64, 0x3f7ee86f
	s_mov_b32 s65, s59
	v_mov_b32_e32 v85, v149
	v_pk_mul_f32 v[158:159], v[128:129], s[64:65]
	s_mov_b32 s62, s59
	s_mov_b32 s63, s64
	v_pk_add_f32 v[52:53], v[84:85], v[52:53]
	v_pk_fma_f32 v[84:85], v[118:119], s[62:63], v[158:159] neg_lo:[0,0,1] neg_hi:[0,0,1]
	v_pk_fma_f32 v[186:187], v[118:119], s[62:63], v[158:159]
	v_pk_mul_f32 v[156:157], v[126:127], s[50:51]
	v_mov_b32_e32 v85, v187
	v_pk_add_f32 v[52:53], v[84:85], v[52:53]
	v_pk_fma_f32 v[84:85], v[120:121], s[28:29], v[156:157] neg_lo:[0,0,1] neg_hi:[0,0,1]
	v_pk_fma_f32 v[90:91], v[120:121], s[28:29], v[156:157]
	v_pk_mul_f32 v[180:181], v[124:125], s[34:35]
	v_mov_b32_e32 v85, v91
	;; [unrolled: 5-line block ×3, first 2 shown]
	v_pk_fma_f32 v[58:59], v[142:143], s[6:7], v[174:175] neg_lo:[0,0,1] neg_hi:[0,0,1]
	v_pk_fma_f32 v[164:165], v[142:143], s[6:7], v[174:175]
	v_pk_mul_f32 v[204:205], v[136:137], s[70:71]
	v_pk_add_f32 v[52:53], v[84:85], v[52:53]
	v_mov_b32_e32 v59, v165
	v_pk_fma_f32 v[84:85], v[110:111], s[16:17], v[204:205] neg_lo:[0,0,1] neg_hi:[0,0,1]
	v_pk_fma_f32 v[194:195], v[110:111], s[16:17], v[204:205]
	v_pk_add_f32 v[58:59], v[48:49], v[58:59]
	v_mov_b32_e32 v85, v195
	v_pk_mul_f32 v[86:87], v[134:135], s[50:51]
	v_pk_add_f32 v[58:59], v[84:85], v[58:59]
	v_pk_fma_f32 v[84:85], v[112:113], s[28:29], v[86:87] neg_lo:[0,0,1] neg_hi:[0,0,1]
	v_pk_fma_f32 v[160:161], v[112:113], s[28:29], v[86:87]
	v_pk_mul_f32 v[200:201], v[132:133], s[44:45]
	v_mov_b32_e32 v85, v161
	v_pk_add_f32 v[58:59], v[84:85], v[58:59]
	v_pk_fma_f32 v[84:85], v[114:115], s[20:21], v[200:201] neg_lo:[0,0,1] neg_hi:[0,0,1]
	v_pk_fma_f32 v[192:193], v[114:115], s[20:21], v[200:201]
	v_pk_mul_f32 v[92:93], v[130:131], s[64:65]
	v_mov_b32_e32 v85, v193
	v_pk_add_f32 v[58:59], v[84:85], v[58:59]
	v_pk_fma_f32 v[84:85], v[116:117], s[62:63], v[92:93] neg_lo:[0,0,1] neg_hi:[0,0,1]
	v_pk_fma_f32 v[208:209], v[116:117], s[62:63], v[92:93]
	s_mov_b32 s76, 0xbf2c7751
	s_mov_b32 s77, s41
	v_mov_b32_e32 v85, v209
	v_pk_mul_f32 v[88:89], v[128:129], s[76:77]
	s_mov_b32 s48, s41
	s_mov_b32 s49, s76
	v_pk_add_f32 v[58:59], v[84:85], v[58:59]
	v_pk_fma_f32 v[84:85], v[118:119], s[48:49], v[88:89] neg_lo:[0,0,1] neg_hi:[0,0,1]
	v_pk_fma_f32 v[140:141], v[118:119], s[48:49], v[88:89]
	v_pk_mul_f32 v[152:153], v[126:127], s[52:53]
	v_mov_b32_e32 v85, v141
	v_pk_add_f32 v[58:59], v[84:85], v[58:59]
	v_pk_fma_f32 v[150:151], v[120:121], s[22:23], v[152:153] neg_lo:[0,0,1] neg_hi:[0,0,1]
	v_pk_fma_f32 v[84:85], v[120:121], s[22:23], v[152:153]
	s_mov_b32 s68, 0x3f65296c
	s_mov_b32 s69, s73
	v_mov_b32_e32 v151, v85
	v_pk_mul_f32 v[176:177], v[124:125], s[68:69]
	s_mov_b32 s56, s73
	s_mov_b32 s57, s68
	v_pk_add_f32 v[58:59], v[150:151], v[58:59]
	v_pk_fma_f32 v[150:151], v[122:123], s[56:57], v[176:177] neg_lo:[0,0,1] neg_hi:[0,0,1]
	v_pk_fma_f32 v[178:179], v[122:123], s[56:57], v[176:177]
	v_mov_b32_e32 v108, v2
	v_mov_b32_e32 v151, v179
	;; [unrolled: 1-line block ×28, first 2 shown]
	v_pk_add_f32 v[58:59], v[150:151], v[58:59]
	s_barrier
	s_and_saveexec_b64 s[46:47], s[4:5]
	s_cbranch_execz .LBB0_17
; %bb.16:
	v_pk_add_f32 v[50:51], v[50:51], v[48:49]
	s_mov_b32 s78, s51
	v_pk_add_f32 v[50:51], v[60:61], v[50:51]
	v_pk_mul_f32 v[150:151], v[216:217], s[50:51] op_sel_hi:[1,0]
	v_pk_add_f32 v[50:51], v[62:63], v[50:51]
	v_accvgpr_read_b32 v60, a2
	v_pk_add_f32 v[50:51], v[64:65], v[50:51]
	v_mul_lo_u16_e32 v60, 17, v60
	v_pk_add_f32 v[50:51], v[66:67], v[50:51]
	v_accvgpr_read_b32 v61, a5
	v_pk_add_f32 v[50:51], v[68:69], v[50:51]
	v_pk_mul_f32 v[64:65], v[136:137], s[76:77]
	v_pk_add_f32 v[50:51], v[70:71], v[50:51]
	v_accvgpr_write_b32 a3, v183
	v_pk_add_f32 v[50:51], v[72:73], v[50:51]
	v_lshl_add_u32 v183, v60, 3, v61
	v_pk_add_f32 v[50:51], v[74:75], v[50:51]
	v_pk_fma_f32 v[62:63], v[110:111], s[48:49], v[64:65]
	v_pk_add_f32 v[50:51], v[76:77], v[50:51]
	v_pk_fma_f32 v[60:61], v[110:111], s[48:49], v[64:65] neg_lo:[1,0,0] neg_hi:[1,0,0]
	v_pk_add_f32 v[50:51], v[78:79], v[50:51]
	v_accvgpr_write_b32 a12, v64
	v_pk_add_f32 v[50:51], v[80:81], v[50:51]
	v_accvgpr_write_b32 a13, v65
	v_pk_add_f32 v[50:51], v[82:83], v[50:51]
	v_mov_b32_e32 v60, v62
	v_pk_add_f32 v[44:45], v[44:45], v[50:51]
	v_pk_fma_f32 v[50:51], v[138:139], s[78:79], v[150:151] op_sel:[0,0,1] op_sel_hi:[1,0,0]
	v_pk_add_f32 v[44:45], v[46:47], v[44:45]
	v_pk_fma_f32 v[46:47], v[138:139], s[78:79], v[150:151] op_sel:[0,0,1] op_sel_hi:[1,0,0] neg_lo:[0,0,1] neg_hi:[0,0,1]
	v_accvgpr_write_b32 a5, v51
	v_mov_b32_e32 v51, v47
	v_pk_add_f32 v[50:51], v[48:49], v[50:51]
	v_pk_mul_f32 v[64:65], v[134:135], s[72:73]
	v_accvgpr_write_b32 a9, v63
	v_pk_add_f32 v[50:51], v[60:61], v[50:51]
	v_pk_fma_f32 v[62:63], v[112:113], s[0:1], v[64:65]
	v_pk_fma_f32 v[60:61], v[112:113], s[0:1], v[64:65] neg_lo:[1,0,0] neg_hi:[1,0,0]
	v_accvgpr_write_b32 a16, v64
	v_accvgpr_write_b32 a17, v65
	v_mov_b32_e32 v60, v62
	v_pk_mul_f32 v[64:65], v[132:133], s[58:59]
	v_accvgpr_write_b32 a11, v63
	v_pk_add_f32 v[50:51], v[60:61], v[50:51]
	v_pk_fma_f32 v[62:63], v[114:115], s[18:19], v[64:65]
	v_pk_fma_f32 v[60:61], v[114:115], s[18:19], v[64:65] neg_lo:[1,0,0] neg_hi:[1,0,0]
	v_accvgpr_write_b32 a20, v64
	v_accvgpr_write_b32 a21, v65
	v_mov_b32_e32 v60, v62
	v_pk_mul_f32 v[64:65], v[130:131], s[60:61]
	v_accvgpr_write_b32 a15, v63
	v_pk_add_f32 v[50:51], v[60:61], v[50:51]
	v_pk_fma_f32 v[62:63], v[116:117], s[30:31], v[64:65]
	v_pk_fma_f32 v[60:61], v[116:117], s[30:31], v[64:65] neg_lo:[1,0,0] neg_hi:[1,0,0]
	v_pk_mul_f32 v[76:77], v[128:129], s[34:35]
	v_mov_b32_e32 v60, v62
	v_accvgpr_write_b32 a19, v63
	v_pk_add_f32 v[50:51], v[60:61], v[50:51]
	v_pk_fma_f32 v[62:63], v[118:119], s[6:7], v[76:77]
	v_pk_fma_f32 v[60:61], v[118:119], s[6:7], v[76:77] neg_lo:[1,0,0] neg_hi:[1,0,0]
	v_pk_mul_f32 v[80:81], v[126:127], s[44:45]
	v_mov_b32_e32 v60, v62
	;; [unrolled: 6-line block ×3, first 2 shown]
	v_accvgpr_write_b32 a27, v63
	v_pk_add_f32 v[50:51], v[60:61], v[50:51]
	v_pk_fma_f32 v[62:63], v[122:123], s[22:23], v[74:75]
	v_pk_fma_f32 v[60:61], v[122:123], s[22:23], v[74:75] neg_lo:[1,0,0] neg_hi:[1,0,0]
	v_pk_add_f32 v[44:45], v[190:191], v[44:45]
	v_mov_b32_e32 v60, v62
	v_pk_add_f32 v[50:51], v[60:61], v[50:51]
	ds_write2_b64 v183, v[44:45], v[50:51] offset1:1
	s_mov_b32 s72, s41
	v_pk_mul_f32 v[44:45], v[216:217], s[76:77] op_sel_hi:[1,0]
	v_pk_mul_f32 v[70:71], v[136:137], s[58:59]
	v_pk_fma_f32 v[50:51], v[138:139], s[72:73], v[44:45] op_sel:[0,0,1] op_sel_hi:[1,0,0]
	v_pk_fma_f32 v[150:151], v[138:139], s[72:73], v[44:45] op_sel:[0,0,1] op_sel_hi:[1,0,0] neg_lo:[0,0,1] neg_hi:[0,0,1]
	v_mov_b32_e32 v44, v50
	v_accvgpr_write_b32 a31, v51
	v_mov_b32_e32 v45, v151
	v_pk_fma_f32 v[60:61], v[110:111], s[18:19], v[70:71]
	v_pk_fma_f32 v[50:51], v[110:111], s[18:19], v[70:71] neg_lo:[1,0,0] neg_hi:[1,0,0]
	v_pk_add_f32 v[44:45], v[48:49], v[44:45]
	v_mov_b32_e32 v50, v60
	v_pk_mul_f32 v[68:69], v[134:135], s[34:35]
	v_accvgpr_write_b32 a33, v61
	v_pk_add_f32 v[44:45], v[50:51], v[44:45]
	v_pk_fma_f32 v[60:61], v[112:113], s[6:7], v[68:69]
	v_pk_fma_f32 v[50:51], v[112:113], s[6:7], v[68:69] neg_lo:[1,0,0] neg_hi:[1,0,0]
	v_pk_mul_f32 v[66:67], v[132:133], s[52:53]
	v_mov_b32_e32 v50, v60
	v_accvgpr_write_b32 a24, v64
	v_accvgpr_write_b32 a35, v61
	v_pk_add_f32 v[44:45], v[50:51], v[44:45]
	v_pk_fma_f32 v[60:61], v[114:115], s[22:23], v[66:67]
	v_pk_fma_f32 v[50:51], v[114:115], s[22:23], v[66:67] neg_lo:[1,0,0] neg_hi:[1,0,0]
	v_accvgpr_write_b32 a25, v65
	v_mov_b32_e32 v50, v60
	v_pk_mul_f32 v[64:65], v[130:131], s[74:75]
	v_accvgpr_write_b32 a37, v61
	v_pk_add_f32 v[44:45], v[50:51], v[44:45]
	v_pk_fma_f32 v[60:61], v[116:117], s[38:39], v[64:65]
	v_pk_fma_f32 v[50:51], v[116:117], s[38:39], v[64:65] neg_lo:[1,0,0] neg_hi:[1,0,0]
	v_accvgpr_write_b32 a29, v63
	v_mov_b32_e32 v50, v60
	v_pk_mul_f32 v[62:63], v[128:129], s[70:71]
	;; [unrolled: 7-line block ×3, first 2 shown]
	v_pk_add_f32 v[44:45], v[50:51], v[44:45]
	v_pk_fma_f32 v[50:51], v[120:121], s[56:57], v[60:61]
	v_pk_fma_f32 v[82:83], v[120:121], s[56:57], v[60:61] neg_lo:[1,0,0] neg_hi:[1,0,0]
	v_pk_mul_f32 v[72:73], v[124:125], s[54:55]
	v_mov_b32_e32 v82, v50
	v_pk_add_f32 v[82:83], v[82:83], v[44:45]
	v_pk_fma_f32 v[44:45], v[122:123], s[26:27], v[72:73]
	v_pk_fma_f32 v[78:79], v[122:123], s[26:27], v[72:73] neg_lo:[1,0,0] neg_hi:[1,0,0]
	v_accvgpr_write_b32 a57, v45
	v_mov_b32_e32 v78, v44
	v_accvgpr_read_b32 v45, a7
	v_pk_add_f32 v[78:79], v[78:79], v[82:83]
	v_pk_mul_f32 v[82:83], v[142:143], s[0:1]
	v_accvgpr_read_b32 v44, a6
	v_pk_add_f32 v[82:83], v[44:45], v[82:83] neg_lo:[0,1] neg_hi:[0,1]
	v_accvgpr_read_b32 v45, a41
	v_mov_b32_e32 v145, v83
	v_pk_mul_f32 v[82:83], v[110:111], s[6:7]
	v_accvgpr_read_b32 v44, a40
	v_pk_add_f32 v[82:83], v[44:45], v[82:83] neg_lo:[0,1] neg_hi:[0,1]
	v_accvgpr_read_b32 v44, a44
	v_mov_b32_e32 v47, v184
	v_mov_b32_e32 v85, v185
	v_pk_mul_f32 v[184:185], v[112:113], s[36:37]
	v_accvgpr_read_b32 v45, a45
	v_mov_b32_e32 v163, v83
	v_pk_mul_f32 v[82:83], v[114:115], s[16:17]
	v_pk_add_f32 v[184:185], v[44:45], v[184:185] neg_lo:[0,1] neg_hi:[0,1]
	v_accvgpr_read_b32 v44, a46
	v_pk_add_f32 v[82:83], v[196:197], v[82:83] neg_lo:[0,1] neg_hi:[0,1]
	v_pk_mul_f32 v[196:197], v[142:143], s[18:19]
	v_accvgpr_read_b32 v45, a47
	v_pk_add_f32 v[144:145], v[48:49], v[144:145]
	v_pk_add_f32 v[196:197], v[44:45], v[196:197] neg_lo:[0,1] neg_hi:[0,1]
	v_accvgpr_read_b32 v44, a50
	v_pk_add_f32 v[144:145], v[162:163], v[144:145]
	v_mov_b32_e32 v173, v185
	v_mov_b32_e32 v189, v83
	v_pk_mul_f32 v[82:83], v[110:111], s[22:23]
	v_accvgpr_read_b32 v45, a51
	v_pk_add_f32 v[144:145], v[172:173], v[144:145]
	v_pk_add_f32 v[82:83], v[44:45], v[82:83] neg_lo:[0,1] neg_hi:[0,1]
	v_accvgpr_read_b32 v45, a43
	v_pk_add_f32 v[144:145], v[188:189], v[144:145]
	v_pk_mul_f32 v[188:189], v[112:113], s[16:17]
	v_mov_b32_e32 v147, v197
	v_accvgpr_read_b32 v44, a42
	v_mov_b32_e32 v171, v83
	v_pk_add_f32 v[146:147], v[48:49], v[146:147]
	v_pk_add_f32 v[188:189], v[44:45], v[188:189] neg_lo:[0,1] neg_hi:[0,1]
	v_pk_add_f32 v[146:147], v[170:171], v[146:147]
	v_mov_b32_e32 v169, v189
	v_pk_mul_f32 v[162:163], v[116:117], s[24:25]
	v_pk_add_f32 v[146:147], v[168:169], v[146:147]
	v_accvgpr_read_b32 v169, a55
	v_pk_add_f32 v[162:163], v[210:211], v[162:163] neg_lo:[0,1] neg_hi:[0,1]
	v_pk_mul_f32 v[210:211], v[114:115], s[26:27]
	v_accvgpr_read_b32 v168, a54
	v_pk_add_f32 v[168:169], v[168:169], v[210:211] neg_lo:[0,1] neg_hi:[0,1]
	v_mov_b32_e32 v203, v163
	v_mov_b32_e32 v207, v169
	v_accvgpr_read_b32 v169, a59
	v_pk_mul_f32 v[162:163], v[116:117], s[0:1]
	v_accvgpr_read_b32 v168, a58
	v_pk_mul_f32 v[190:191], v[118:119], s[28:29]
	v_pk_add_f32 v[144:145], v[202:203], v[144:145]
	v_pk_mul_f32 v[202:203], v[118:119], s[20:21]
	v_pk_add_f32 v[162:163], v[168:169], v[162:163] neg_lo:[0,1] neg_hi:[0,1]
	v_pk_add_f32 v[190:191], v[220:221], v[190:191] neg_lo:[0,1] neg_hi:[0,1]
	v_pk_mul_f32 v[220:221], v[120:121], s[42:43]
	v_mov_b32_e32 v213, v163
	v_pk_add_f32 v[162:163], v[222:223], v[202:203] neg_lo:[0,1] neg_hi:[0,1]
	v_mov_b32_e32 v215, v191
	v_pk_mul_f32 v[190:191], v[122:123], s[24:25]
	v_mov_b32_e32 v219, v163
	v_pk_add_f32 v[162:163], v[230:231], v[220:221] neg_lo:[0,1] neg_hi:[0,1]
	v_pk_mul_f32 v[184:185], v[120:121], s[18:19]
	v_pk_add_f32 v[144:145], v[214:215], v[144:145]
	v_pk_mul_f32 v[214:215], v[142:143], s[30:31]
	v_mov_b32_e32 v235, v163
	v_pk_add_f32 v[162:163], v[238:239], v[190:191] neg_lo:[0,1] neg_hi:[0,1]
	v_pk_add_f32 v[184:185], v[228:229], v[184:185] neg_lo:[0,1] neg_hi:[0,1]
	v_pk_mul_f32 v[228:229], v[110:111], s[38:39]
	v_mov_b32_e32 v237, v163
	v_pk_add_f32 v[162:163], v[240:241], v[214:215] neg_lo:[0,1] neg_hi:[0,1]
	v_mov_b32_e32 v225, v185
	v_pk_mul_f32 v[184:185], v[112:113], s[24:25]
	v_mov_b32_e32 v243, v163
	v_pk_add_f32 v[168:169], v[244:245], v[228:229] neg_lo:[0,1] neg_hi:[0,1]
	v_pk_mul_f32 v[172:173], v[122:123], s[20:21]
	v_pk_add_f32 v[144:145], v[224:225], v[144:145]
	v_pk_mul_f32 v[224:225], v[114:115], s[0:1]
	v_pk_add_f32 v[162:163], v[48:49], v[242:243]
	v_mov_b32_e32 v247, v169
	v_pk_add_f32 v[168:169], v[250:251], v[184:185] neg_lo:[0,1] neg_hi:[0,1]
	v_pk_add_f32 v[172:173], v[232:233], v[172:173] neg_lo:[0,1] neg_hi:[0,1]
	v_pk_mul_f32 v[232:233], v[116:117], s[22:23]
	v_pk_add_f32 v[162:163], v[246:247], v[162:163]
	v_mov_b32_e32 v249, v169
	v_pk_add_f32 v[168:169], v[254:255], v[224:225] neg_lo:[0,1] neg_hi:[0,1]
	v_mov_b32_e32 v227, v173
	v_pk_mul_f32 v[172:173], v[118:119], s[62:63]
	v_pk_add_f32 v[162:163], v[248:249], v[162:163]
	v_mov_b32_e32 v253, v169
	v_pk_add_f32 v[154:155], v[154:155], v[232:233] neg_lo:[0,1] neg_hi:[0,1]
	v_pk_add_f32 v[144:145], v[226:227], v[144:145]
	v_pk_mul_f32 v[226:227], v[120:121], s[28:29]
	v_pk_add_f32 v[146:147], v[206:207], v[146:147]
	v_pk_add_f32 v[162:163], v[252:253], v[162:163]
	v_mov_b32_e32 v149, v155
	v_pk_add_f32 v[154:155], v[158:159], v[172:173] neg_lo:[0,1] neg_hi:[0,1]
	ds_write2_b64 v183, v[78:79], v[144:145] offset0:2 offset1:3
	v_pk_mul_f32 v[78:79], v[122:123], s[6:7]
	v_pk_add_f32 v[146:147], v[212:213], v[146:147]
	v_pk_add_f32 v[148:149], v[148:149], v[162:163]
	v_mov_b32_e32 v187, v155
	v_pk_add_f32 v[154:155], v[156:157], v[226:227] neg_lo:[0,1] neg_hi:[0,1]
	v_pk_add_f32 v[146:147], v[218:219], v[146:147]
	v_pk_add_f32 v[148:149], v[186:187], v[148:149]
	v_mov_b32_e32 v91, v155
	v_pk_add_f32 v[78:79], v[180:181], v[78:79] neg_lo:[0,1] neg_hi:[0,1]
	v_pk_add_f32 v[146:147], v[234:235], v[146:147]
	v_pk_add_f32 v[90:91], v[90:91], v[148:149]
	v_mov_b32_e32 v167, v79
	v_pk_mul_f32 v[142:143], v[142:143], s[6:7]
	v_pk_add_f32 v[146:147], v[236:237], v[146:147]
	v_pk_add_f32 v[78:79], v[166:167], v[90:91]
	v_pk_mul_f32 v[144:145], v[110:111], s[16:17]
	v_accvgpr_write_b32 a6, v198
	ds_write2_b64 v183, v[146:147], v[78:79] offset0:4 offset1:5
	v_pk_add_f32 v[78:79], v[174:175], v[142:143] neg_lo:[0,1] neg_hi:[0,1]
	v_accvgpr_write_b32 a7, v199
	v_pk_mul_f32 v[198:199], v[112:113], s[28:29]
	v_mov_b32_e32 v165, v79
	v_pk_add_f32 v[90:91], v[204:205], v[144:145] neg_lo:[0,1] neg_hi:[0,1]
	v_pk_mul_f32 v[196:197], v[114:115], s[20:21]
	v_pk_add_f32 v[78:79], v[48:49], v[164:165]
	v_mov_b32_e32 v195, v91
	v_pk_add_f32 v[86:87], v[86:87], v[198:199] neg_lo:[0,1] neg_hi:[0,1]
	v_accvgpr_write_b32 a53, v51
	v_mov_b64_e32 v[50:51], v[216:217]
	v_pk_mul_f32 v[216:217], v[116:117], s[62:63]
	v_pk_add_f32 v[78:79], v[194:195], v[78:79]
	v_mov_b32_e32 v161, v87
	v_pk_add_f32 v[86:87], v[200:201], v[196:197] neg_lo:[0,1] neg_hi:[0,1]
	v_pk_mul_f32 v[82:83], v[118:119], s[48:49]
	v_pk_add_f32 v[78:79], v[160:161], v[78:79]
	v_mov_b32_e32 v193, v87
	v_pk_add_f32 v[86:87], v[92:93], v[216:217] neg_lo:[0,1] neg_hi:[0,1]
	;; [unrolled: 4-line block ×4, first 2 shown]
	v_mov_b32_e32 v185, v85
	v_pk_add_f32 v[78:79], v[140:141], v[78:79]
	v_mov_b32_e32 v85, v83
	v_pk_add_f32 v[44:45], v[176:177], v[44:45] neg_lo:[0,1] neg_hi:[0,1]
	v_pk_add_f32 v[78:79], v[84:85], v[78:79]
	v_mov_b32_e32 v179, v45
	v_pk_add_f32 v[44:45], v[178:179], v[78:79]
	s_mov_b32 s70, s45
	v_pk_mul_f32 v[78:79], v[50:51], s[44:45] op_sel_hi:[1,0]
	v_pk_mul_f32 v[86:87], v[136:137], s[68:69]
	v_pk_fma_f32 v[82:83], v[138:139], s[70:71], v[78:79] op_sel:[0,0,1] op_sel_hi:[1,0,0]
	v_pk_fma_f32 v[78:79], v[138:139], s[70:71], v[78:79] op_sel:[0,0,1] op_sel_hi:[1,0,0] neg_lo:[0,0,1] neg_hi:[0,0,1]
	v_mov_b32_e32 v84, v82
	v_mov_b32_e32 v85, v79
	v_pk_fma_f32 v[88:89], v[110:111], s[56:57], v[86:87]
	v_pk_fma_f32 v[90:91], v[110:111], s[56:57], v[86:87] neg_lo:[1,0,0] neg_hi:[1,0,0]
	v_pk_add_f32 v[84:85], v[48:49], v[84:85]
	v_mov_b32_e32 v90, v88
	v_pk_add_f32 v[84:85], v[90:91], v[84:85]
	v_pk_mul_f32 v[90:91], v[134:135], s[58:59]
	v_pk_mul_f32 v[136:137], v[136:137], s[54:55]
	v_pk_fma_f32 v[92:93], v[112:113], s[18:19], v[90:91]
	v_pk_fma_f32 v[140:141], v[112:113], s[18:19], v[90:91] neg_lo:[1,0,0] neg_hi:[1,0,0]
	v_pk_fma_f32 v[164:165], v[110:111], s[26:27], v[136:137] neg_lo:[1,0,0] neg_hi:[1,0,0]
	v_mov_b32_e32 v140, v92
	v_pk_add_f32 v[84:85], v[140:141], v[84:85]
	v_pk_mul_f32 v[140:141], v[132:133], s[66:67]
	v_pk_mul_f32 v[134:135], v[134:135], s[44:45]
	v_pk_fma_f32 v[142:143], v[114:115], s[42:43], v[140:141]
	v_pk_fma_f32 v[144:145], v[114:115], s[42:43], v[140:141] neg_lo:[1,0,0] neg_hi:[1,0,0]
	v_pk_fma_f32 v[166:167], v[112:113], s[20:21], v[134:135] neg_lo:[1,0,0] neg_hi:[1,0,0]
	;; [unrolled: 7-line block ×6, first 2 shown]
	v_mov_b32_e32 v162, v160
	v_pk_add_f32 v[84:85], v[162:163], v[84:85]
	ds_write2_b64 v183, v[44:45], v[84:85] offset0:6 offset1:7
	v_pk_mul_f32 v[44:45], v[50:51], s[52:53] op_sel_hi:[1,0]
	v_pk_fma_f32 v[162:163], v[110:111], s[26:27], v[136:137]
	v_pk_fma_f32 v[84:85], v[138:139], s[36:37], v[44:45] op_sel:[0,0,1] op_sel_hi:[1,0,0]
	v_pk_fma_f32 v[44:45], v[138:139], s[36:37], v[44:45] op_sel:[0,0,1] op_sel_hi:[1,0,0] neg_lo:[0,0,1] neg_hi:[0,0,1]
	v_mov_b32_e32 v138, v84
	v_mov_b32_e32 v139, v45
	;; [unrolled: 1-line block ×3, first 2 shown]
	v_pk_fma_f32 v[84:85], v[110:111], s[26:27], v[136:137] neg_lo:[0,0,1] neg_hi:[0,0,1]
	v_pk_add_f32 v[138:139], v[48:49], v[138:139]
	v_mov_b32_e32 v164, v162
	v_pk_add_f32 v[44:45], v[48:49], v[44:45]
	v_mov_b32_e32 v85, v163
	v_pk_add_f32 v[138:139], v[164:165], v[138:139]
	v_pk_fma_f32 v[164:165], v[112:113], s[20:21], v[134:135]
	v_pk_add_f32 v[44:45], v[84:85], v[44:45]
	v_pk_fma_f32 v[84:85], v[112:113], s[20:21], v[134:135] neg_lo:[0,0,1] neg_hi:[0,0,1]
	v_mov_b32_e32 v166, v164
	v_mov_b32_e32 v85, v165
	v_pk_add_f32 v[138:139], v[166:167], v[138:139]
	v_pk_fma_f32 v[166:167], v[114:115], s[24:25], v[132:133]
	v_pk_add_f32 v[44:45], v[84:85], v[44:45]
	v_pk_fma_f32 v[84:85], v[114:115], s[24:25], v[132:133] neg_lo:[0,0,1] neg_hi:[0,0,1]
	v_mov_b32_e32 v168, v166
	;; [unrolled: 6-line block ×5, first 2 shown]
	v_pk_mul_f32 v[124:125], v[124:125], s[64:65]
	v_mov_b32_e32 v85, v173
	v_pk_add_f32 v[138:139], v[174:175], v[138:139]
	v_pk_fma_f32 v[174:175], v[122:123], s[62:63], v[124:125]
	v_pk_fma_f32 v[176:177], v[122:123], s[62:63], v[124:125] neg_lo:[1,0,0] neg_hi:[1,0,0]
	v_pk_add_f32 v[44:45], v[84:85], v[44:45]
	v_pk_fma_f32 v[84:85], v[122:123], s[62:63], v[124:125] neg_lo:[0,0,1] neg_hi:[0,0,1]
	v_mov_b32_e32 v176, v174
	v_mov_b32_e32 v85, v175
	v_pk_add_f32 v[138:139], v[176:177], v[138:139]
	v_pk_add_f32 v[44:45], v[84:85], v[44:45]
	v_mov_b32_e32 v79, v83
	ds_write2_b64 v183, v[138:139], v[44:45] offset0:8 offset1:9
	v_pk_add_f32 v[44:45], v[48:49], v[78:79]
	v_pk_fma_f32 v[78:79], v[110:111], s[56:57], v[86:87] neg_lo:[0,0,1] neg_hi:[0,0,1]
	v_accvgpr_read_b32 v151, a31
	v_mov_b32_e32 v79, v89
	v_pk_add_f32 v[44:45], v[78:79], v[44:45]
	v_pk_fma_f32 v[78:79], v[112:113], s[18:19], v[90:91] neg_lo:[0,0,1] neg_hi:[0,0,1]
	v_pk_fma_f32 v[70:71], v[110:111], s[18:19], v[70:71] neg_lo:[0,0,1] neg_hi:[0,0,1]
	v_mov_b32_e32 v79, v93
	v_pk_add_f32 v[44:45], v[78:79], v[44:45]
	v_pk_fma_f32 v[78:79], v[114:115], s[42:43], v[140:141] neg_lo:[0,0,1] neg_hi:[0,0,1]
	v_accvgpr_read_b32 v71, a33
	v_mov_b32_e32 v79, v143
	v_pk_add_f32 v[44:45], v[78:79], v[44:45]
	v_pk_fma_f32 v[78:79], v[116:117], s[28:29], v[144:145] neg_lo:[0,0,1] neg_hi:[0,0,1]
	v_pk_fma_f32 v[68:69], v[112:113], s[6:7], v[68:69] neg_lo:[0,0,1] neg_hi:[0,0,1]
	v_mov_b32_e32 v79, v147
	;; [unrolled: 8-line block ×3, first 2 shown]
	v_pk_add_f32 v[44:45], v[78:79], v[44:45]
	v_pk_fma_f32 v[78:79], v[122:123], s[30:31], v[158:159] neg_lo:[0,0,1] neg_hi:[0,0,1]
	v_accvgpr_read_b32 v67, a37
	v_mov_b32_e32 v79, v161
	v_pk_add_f32 v[44:45], v[78:79], v[44:45]
	ds_write2_b64 v183, v[44:45], v[58:59] offset0:10 offset1:11
	ds_write2_b64 v183, v[52:53], v[54:55] offset0:12 offset1:13
	v_pk_add_f32 v[44:45], v[48:49], v[150:151]
	v_pk_fma_f32 v[64:65], v[116:117], s[38:39], v[64:65] neg_lo:[0,0,1] neg_hi:[0,0,1]
	v_pk_add_f32 v[44:45], v[70:71], v[44:45]
	v_accvgpr_read_b32 v65, a39
	v_pk_add_f32 v[44:45], v[68:69], v[44:45]
	v_pk_fma_f32 v[62:63], v[118:119], s[16:17], v[62:63] neg_lo:[0,0,1] neg_hi:[0,0,1]
	v_pk_add_f32 v[44:45], v[66:67], v[44:45]
	v_accvgpr_read_b32 v63, a49
	;; [unrolled: 4-line block ×3, first 2 shown]
	v_pk_fma_f32 v[50:51], v[122:123], s[26:27], v[72:73] neg_lo:[0,0,1] neg_hi:[0,0,1]
	v_accvgpr_read_b32 v199, a7
	v_pk_add_f32 v[44:45], v[60:61], v[44:45]
	v_accvgpr_read_b32 v51, a57
	v_mov_b32_e32 v184, v47
	v_accvgpr_read_b32 v198, a6
	v_pk_add_f32 v[44:45], v[50:51], v[44:45]
	v_accvgpr_read_b32 v47, a5
	ds_write2_b64 v183, v[198:199], v[44:45] offset0:14 offset1:15
	v_pk_add_f32 v[44:45], v[48:49], v[46:47]
	v_accvgpr_read_b32 v47, a13
	v_accvgpr_read_b32 v46, a12
	v_pk_fma_f32 v[46:47], v[110:111], s[48:49], v[46:47] neg_lo:[0,0,1] neg_hi:[0,0,1]
	s_nop 0
	v_accvgpr_read_b32 v47, a9
	v_pk_add_f32 v[44:45], v[46:47], v[44:45]
	v_accvgpr_read_b32 v47, a17
	v_accvgpr_read_b32 v46, a16
	v_pk_fma_f32 v[46:47], v[112:113], s[0:1], v[46:47] neg_lo:[0,0,1] neg_hi:[0,0,1]
	s_nop 0
	v_accvgpr_read_b32 v47, a11
	v_pk_add_f32 v[44:45], v[46:47], v[44:45]
	v_accvgpr_read_b32 v47, a21
	v_accvgpr_read_b32 v46, a20
	v_pk_fma_f32 v[46:47], v[114:115], s[18:19], v[46:47] neg_lo:[0,0,1] neg_hi:[0,0,1]
	s_nop 0
	v_accvgpr_read_b32 v47, a15
	v_pk_add_f32 v[44:45], v[46:47], v[44:45]
	v_accvgpr_read_b32 v47, a25
	v_accvgpr_read_b32 v46, a24
	v_pk_fma_f32 v[46:47], v[116:117], s[30:31], v[46:47] neg_lo:[0,0,1] neg_hi:[0,0,1]
	s_nop 0
	v_accvgpr_read_b32 v47, a19
	v_pk_add_f32 v[44:45], v[46:47], v[44:45]
	v_pk_fma_f32 v[46:47], v[118:119], s[6:7], v[76:77] neg_lo:[0,0,1] neg_hi:[0,0,1]
	s_nop 0
	v_accvgpr_read_b32 v47, a23
	v_pk_add_f32 v[44:45], v[46:47], v[44:45]
	v_pk_fma_f32 v[46:47], v[120:121], s[20:21], v[80:81] neg_lo:[0,0,1] neg_hi:[0,0,1]
	s_nop 0
	v_accvgpr_read_b32 v47, a27
	;; [unrolled: 4-line block ×3, first 2 shown]
	v_pk_add_f32 v[44:45], v[46:47], v[44:45]
	ds_write_b64 v183, v[44:45] offset:128
	v_accvgpr_read_b32 v183, a3
.LBB0_17:
	s_or_b64 exec, exec, s[46:47]
	s_waitcnt lgkmcnt(0)
	s_barrier
	ds_read2_b64 v[72:75], v183 offset0:170 offset1:255
	ds_read2_b64 v[44:47], v183 offset1:85
	v_add_u32_e32 v71, 0x800, v183
	ds_read2_b64 v[76:79], v71 offset0:84 offset1:169
	v_add_u32_e32 v70, 0xc00, v183
	s_waitcnt lgkmcnt(2)
	v_pk_mul_f32 v[2:3], v[2:3], v[72:73]
	ds_read2_b64 v[80:83], v70 offset0:126 offset1:211
	v_pk_fma_f32 v[90:91], v[108:109], v[72:73], v[2:3] op_sel:[0,0,1] op_sel_hi:[1,1,0]
	v_pk_fma_f32 v[2:3], v[108:109], v[72:73], v[2:3] op_sel:[0,0,1] op_sel_hi:[1,1,0] neg_lo:[0,0,1] neg_hi:[0,0,1]
	v_add_u32_e32 v70, 0x1000, v183
	v_mov_b32_e32 v91, v3
	v_pk_mul_f32 v[2:3], v[16:17], v[74:75]
	ds_read2_b64 v[84:87], v70 offset0:168 offset1:253
	ds_read_b64 v[88:89], v183 offset:6800
	v_pk_fma_f32 v[16:17], v[106:107], v[74:75], v[2:3] op_sel:[0,0,1] op_sel_hi:[1,1,0]
	v_pk_fma_f32 v[2:3], v[106:107], v[74:75], v[2:3] op_sel:[0,0,1] op_sel_hi:[1,1,0] neg_lo:[0,0,1] neg_hi:[0,0,1]
	s_mov_b32 s18, 0xbf4178ce
	v_mov_b32_e32 v17, v3
	s_waitcnt lgkmcnt(3)
	v_pk_mul_f32 v[2:3], v[18:19], v[76:77]
	s_mov_b32 s19, 0xbf27a4f4
	v_pk_fma_f32 v[18:19], v[104:105], v[76:77], v[2:3] op_sel:[0,0,1] op_sel_hi:[1,1,0]
	v_pk_fma_f32 v[72:73], v[104:105], v[76:77], v[2:3] op_sel:[0,0,1] op_sel_hi:[1,1,0] neg_lo:[0,0,1] neg_hi:[0,0,1]
	v_pk_mul_f32 v[2:3], v[12:13], v[78:79]
	v_mov_b32_e32 v74, v18
	v_pk_fma_f32 v[12:13], v[102:103], v[78:79], v[2:3] op_sel:[0,0,1] op_sel_hi:[1,1,0]
	v_pk_fma_f32 v[76:77], v[102:103], v[78:79], v[2:3] op_sel:[0,0,1] op_sel_hi:[1,1,0] neg_lo:[0,0,1] neg_hi:[0,0,1]
	s_waitcnt lgkmcnt(2)
	v_pk_mul_f32 v[2:3], v[14:15], v[80:81]
	v_mov_b32_e32 v75, v73
	v_pk_fma_f32 v[14:15], v[100:101], v[80:81], v[2:3] op_sel:[0,0,1] op_sel_hi:[1,1,0]
	v_pk_fma_f32 v[80:81], v[100:101], v[80:81], v[2:3] op_sel:[0,0,1] op_sel_hi:[1,1,0] neg_lo:[0,0,1] neg_hi:[0,0,1]
	v_pk_mul_f32 v[2:3], v[4:5], v[82:83]
	v_mov_b32_e32 v78, v12
	v_pk_fma_f32 v[4:5], v[98:99], v[82:83], v[2:3] op_sel:[0,0,1] op_sel_hi:[1,1,0]
	v_pk_fma_f32 v[82:83], v[98:99], v[82:83], v[2:3] op_sel:[0,0,1] op_sel_hi:[1,1,0] neg_lo:[0,0,1] neg_hi:[0,0,1]
	s_waitcnt lgkmcnt(1)
	v_pk_mul_f32 v[2:3], v[6:7], v[84:85]
	v_mov_b32_e32 v98, v4
	v_pk_fma_f32 v[6:7], v[96:97], v[84:85], v[2:3] op_sel:[0,0,1] op_sel_hi:[1,1,0]
	v_pk_fma_f32 v[2:3], v[96:97], v[84:85], v[2:3] op_sel:[0,0,1] op_sel_hi:[1,1,0] neg_lo:[0,0,1] neg_hi:[0,0,1]
	v_pk_mul_f32 v[84:85], v[0:1], v[46:47] op_sel:[1,0]
	v_mov_b32_e32 v7, v3
	v_pk_mul_f32 v[2:3], v[8:9], v[86:87]
	v_mov_b32_e32 v79, v77
	v_pk_fma_f32 v[8:9], v[94:95], v[86:87], v[2:3] op_sel:[0,0,1] op_sel_hi:[1,1,0]
	v_pk_fma_f32 v[2:3], v[94:95], v[86:87], v[2:3] op_sel:[0,0,1] op_sel_hi:[1,1,0] neg_lo:[0,0,1] neg_hi:[0,0,1]
	v_pk_fma_f32 v[86:87], v[0:1], v[46:47], v[84:85] op_sel:[0,0,1] op_sel_hi:[1,1,0]
	v_mov_b32_e32 v9, v3
	s_waitcnt lgkmcnt(0)
	v_pk_mul_f32 v[2:3], v[10:11], v[88:89]
	v_pk_fma_f32 v[0:1], v[0:1], v[46:47], v[84:85] op_sel:[0,0,1] op_sel_hi:[0,1,0] neg_lo:[0,0,1] neg_hi:[0,0,1]
	v_pk_fma_f32 v[10:11], v[56:57], v[88:89], v[2:3] op_sel:[0,0,1] op_sel_hi:[1,1,0]
	v_pk_fma_f32 v[2:3], v[56:57], v[88:89], v[2:3] op_sel:[0,0,1] op_sel_hi:[1,1,0] neg_lo:[0,0,1] neg_hi:[0,0,1]
	v_mov_b32_e32 v87, v1
	v_mov_b32_e32 v11, v3
	v_pk_add_f32 v[46:47], v[86:87], v[10:11]
	v_pk_add_f32 v[84:85], v[86:87], v[10:11] neg_lo:[0,1] neg_hi:[0,1]
	v_pk_add_f32 v[86:87], v[44:45], v[86:87]
	v_pk_add_f32 v[2:3], v[18:19], v[4:5]
	;; [unrolled: 1-line block ×3, first 2 shown]
	v_pk_add_f32 v[4:5], v[18:19], v[4:5] neg_lo:[0,1] neg_hi:[0,1]
	v_pk_add_f32 v[86:87], v[86:87], v[16:17]
	v_mov_b32_e32 v3, v4
	s_mov_b32 s0, s19
	s_mov_b32 s1, s18
	;; [unrolled: 1-line block ×3, first 2 shown]
	v_pk_add_f32 v[74:75], v[86:87], v[74:75]
	v_mov_b32_e32 v92, v14
	v_mov_b32_e32 v93, v81
	v_pk_add_f32 v[4:5], v[72:73], v[82:83] neg_lo:[0,1] neg_hi:[0,1]
	v_pk_add_f32 v[18:19], v[72:73], v[82:83]
	v_pk_mul_f32 v[56:57], v[2:3], s[0:1]
	s_mov_b32 s20, 0xbe903f40
	s_mov_b32 s6, 0x3f575c64
	v_pk_mul_f32 v[0:1], v[84:85], s[26:27] op_sel_hi:[1,0]
	v_pk_add_f32 v[74:75], v[74:75], v[78:79]
	v_mov_b32_e32 v99, v83
	v_mov_b32_e32 v18, v5
	v_pk_fma_f32 v[72:73], v[4:5], s[18:19], v[56:57] op_sel:[1,0,0] neg_lo:[1,0,0] neg_hi:[1,0,0]
	v_pk_add_f32 v[4:5], v[12:13], v[14:15]
	v_pk_add_f32 v[12:13], v[12:13], v[14:15] neg_lo:[0,1] neg_hi:[0,1]
	s_mov_b32 s21, 0xbf75a155
	v_pk_fma_f32 v[88:89], v[46:47], s[6:7], v[0:1] op_sel:[0,0,1] op_sel_hi:[1,0,0]
	v_pk_fma_f32 v[0:1], v[46:47], s[6:7], v[0:1] op_sel:[0,0,1] op_sel_hi:[1,0,0] neg_lo:[0,0,1] neg_hi:[0,0,1]
	v_pk_add_f32 v[74:75], v[74:75], v[92:93]
	v_mov_b32_e32 v5, v12
	v_pk_add_f32 v[12:13], v[76:77], v[80:81] neg_lo:[0,1] neg_hi:[0,1]
	v_pk_add_f32 v[14:15], v[76:77], v[80:81]
	s_mov_b32 s16, s21
	s_mov_b32 s17, s20
	v_mov_b32_e32 v95, v1
	v_pk_add_f32 v[74:75], v[74:75], v[98:99]
	v_mov_b32_e32 v1, v89
	v_pk_fma_f32 v[82:83], v[18:19], s[18:19], v[56:57]
	v_mov_b32_e32 v14, v13
	v_pk_mul_f32 v[76:77], v[4:5], s[16:17]
	v_pk_add_f32 v[74:75], v[74:75], v[6:7]
	v_pk_add_f32 v[78:79], v[44:45], v[0:1]
	v_pk_fma_f32 v[0:1], v[18:19], s[18:19], v[56:57] neg_lo:[0,0,1] neg_hi:[0,0,1]
	v_mov_b32_e32 v73, v83
	v_pk_fma_f32 v[12:13], v[12:13], s[20:21], v[76:77] op_sel:[1,0,0] neg_lo:[1,0,0] neg_hi:[1,0,0]
	v_pk_fma_f32 v[80:81], v[14:15], s[20:21], v[76:77]
	v_pk_add_f32 v[74:75], v[74:75], v[8:9]
	v_mov_b32_e32 v83, v1
	v_pk_fma_f32 v[0:1], v[14:15], s[20:21], v[76:77] neg_lo:[0,0,1] neg_hi:[0,0,1]
	v_pk_add_f32 v[76:77], v[90:91], v[8:9]
	v_pk_add_f32 v[8:9], v[90:91], v[8:9] neg_lo:[0,1] neg_hi:[0,1]
	s_mov_b32 s35, 0x3ed4b147
	s_mov_b32 s34, 0xbf68dda4
	;; [unrolled: 1-line block ×3, first 2 shown]
	v_mov_b32_e32 v94, v88
	v_pk_add_f32 v[88:89], v[16:17], v[6:7]
	v_pk_add_f32 v[6:7], v[16:17], v[6:7] neg_lo:[0,1] neg_hi:[0,1]
	v_mov_b32_e32 v96, v76
	v_mov_b32_e32 v97, v8
	s_mov_b32 s22, s35
	s_mov_b32 s23, s34
	;; [unrolled: 1-line block ×4, first 2 shown]
	v_pk_mul_f32 v[122:123], v[84:85], s[34:35] op_sel_hi:[1,0]
	v_mov_b32_e32 v13, v81
	v_pk_add_f32 v[10:11], v[74:75], v[10:11]
	v_pk_add_f32 v[74:75], v[44:45], v[94:95]
	v_mov_b32_e32 v81, v1
	s_mov_b32 s24, s19
	v_pk_mul_f32 v[0:1], v[8:9], s[18:19] op_sel_hi:[1,0]
	s_mov_b32 s42, 0x3e903f40
	v_mov_b32_e32 v94, v9
	v_mov_b32_e32 v95, v77
	v_pk_mul_f32 v[96:97], v[96:97], s[22:23]
	v_mov_b32_e32 v104, v88
	v_mov_b32_e32 v105, v6
	s_mov_b32 s30, s37
	s_mov_b32 s31, s36
	v_pk_fma_f32 v[124:125], v[46:47], s[46:47], v[122:123] op_sel:[0,0,1] op_sel_hi:[1,0,0]
	v_pk_fma_f32 v[122:123], v[46:47], s[46:47], v[122:123] op_sel:[0,0,1] op_sel_hi:[1,0,0] neg_lo:[0,0,1] neg_hi:[0,0,1]
	v_pk_fma_f32 v[86:87], v[76:77], s[24:25], v[0:1] op_sel:[0,0,1] op_sel_hi:[1,0,0]
	v_pk_fma_f32 v[0:1], v[76:77], s[24:25], v[0:1] op_sel:[0,0,1] op_sel_hi:[1,0,0] neg_lo:[0,0,1] neg_hi:[0,0,1]
	s_mov_b32 s28, s21
	v_pk_mul_f32 v[16:17], v[6:7], s[42:43] op_sel_hi:[1,0]
	v_pk_fma_f32 v[98:99], v[94:95], s[34:35], v[96:97] neg_lo:[1,0,0] neg_hi:[1,0,0]
	v_pk_fma_f32 v[100:101], v[94:95], s[34:35], v[96:97]
	v_mov_b32_e32 v102, v7
	v_mov_b32_e32 v103, v89
	v_pk_mul_f32 v[104:105], v[104:105], s[30:31]
	v_mov_b32_e32 v126, v124
	v_mov_b32_e32 v127, v123
	v_pk_fma_f32 v[94:95], v[94:95], s[34:35], v[96:97] neg_lo:[0,0,1] neg_hi:[0,0,1]
	v_mov_b32_e32 v56, v86
	v_mov_b32_e32 v57, v1
	v_pk_fma_f32 v[90:91], v[88:89], s[28:29], v[16:17] op_sel:[0,0,1] op_sel_hi:[1,0,0]
	v_pk_fma_f32 v[16:17], v[88:89], s[28:29], v[16:17] op_sel:[0,0,1] op_sel_hi:[1,0,0] neg_lo:[0,0,1] neg_hi:[0,0,1]
	v_mov_b32_e32 v99, v101
	v_pk_fma_f32 v[106:107], v[102:103], s[36:37], v[104:105] neg_lo:[1,0,0] neg_hi:[1,0,0]
	v_pk_fma_f32 v[108:109], v[102:103], s[36:37], v[104:105]
	v_pk_add_f32 v[126:127], v[44:45], v[126:127]
	v_mov_b32_e32 v101, v95
	v_pk_fma_f32 v[94:95], v[102:103], s[36:37], v[104:105] neg_lo:[0,0,1] neg_hi:[0,0,1]
	v_mov_b32_e32 v92, v90
	v_mov_b32_e32 v93, v17
	;; [unrolled: 1-line block ×3, first 2 shown]
	s_mov_b32 s44, 0x3f7d64f0
	s_mov_b32 s45, s37
	v_pk_add_f32 v[74:75], v[100:101], v[74:75]
	v_pk_add_f32 v[56:57], v[56:57], v[126:127]
	v_mov_b32_e32 v109, v95
	v_pk_mul_f32 v[110:111], v[18:19], s[44:45]
	s_mov_b32 s22, s37
	s_mov_b32 s23, s44
	;; [unrolled: 1-line block ×4, first 2 shown]
	v_pk_add_f32 v[74:75], v[108:109], v[74:75]
	v_pk_add_f32 v[56:57], v[92:93], v[56:57]
	s_mov_b32 s48, s37
	v_pk_mul_f32 v[92:93], v[84:85], s[36:37] op_sel_hi:[1,0]
	v_pk_fma_f32 v[112:113], v[2:3], s[22:23], v[110:111]
	v_pk_fma_f32 v[114:115], v[2:3], s[22:23], v[110:111] neg_lo:[1,0,0] neg_hi:[1,0,0]
	v_pk_mul_f32 v[116:117], v[14:15], s[40:41]
	s_mov_b32 s7, s40
	v_pk_add_f32 v[78:79], v[98:99], v[78:79]
	v_pk_add_f32 v[74:75], v[82:83], v[74:75]
	v_pk_fma_f32 v[94:95], v[46:47], s[48:49], v[92:93] op_sel:[0,0,1] op_sel_hi:[1,0,0]
	v_pk_fma_f32 v[92:93], v[46:47], s[48:49], v[92:93] op_sel:[0,0,1] op_sel_hi:[1,0,0] neg_lo:[0,0,1] neg_hi:[0,0,1]
	v_pk_mul_f32 v[98:99], v[8:9], s[42:43] op_sel_hi:[1,0]
	s_mov_b32 s34, 0x3f68dda4
	v_mov_b32_e32 v114, v112
	v_pk_fma_f32 v[118:119], v[4:5], s[6:7], v[116:117]
	v_pk_fma_f32 v[120:121], v[4:5], s[6:7], v[116:117] neg_lo:[1,0,0] neg_hi:[1,0,0]
	v_pk_add_f32 v[78:79], v[106:107], v[78:79]
	v_pk_add_f32 v[74:75], v[80:81], v[74:75]
	s_mov_b32 s27, s6
	v_mov_b32_e32 v96, v94
	v_mov_b32_e32 v97, v93
	v_pk_fma_f32 v[100:101], v[76:77], s[28:29], v[98:99] op_sel:[0,0,1] op_sel_hi:[1,0,0]
	v_pk_fma_f32 v[98:99], v[76:77], s[28:29], v[98:99] op_sel:[0,0,1] op_sel_hi:[1,0,0] neg_lo:[0,0,1] neg_hi:[0,0,1]
	v_pk_mul_f32 v[104:105], v[6:7], s[34:35] op_sel_hi:[1,0]
	s_barrier
	v_mov_b32_e32 v120, v118
	v_pk_add_f32 v[72:73], v[72:73], v[78:79]
	v_pk_add_f32 v[78:79], v[114:115], v[56:57]
	ds_write2_b64 v184, v[10:11], v[74:75] offset1:17
	v_pk_mul_f32 v[10:11], v[18:19], s[26:27]
	s_mov_b32 s38, s6
	s_mov_b32 s39, s26
	v_pk_add_f32 v[96:97], v[44:45], v[96:97]
	v_mov_b32_e32 v102, v100
	v_mov_b32_e32 v103, v99
	v_pk_fma_f32 v[106:107], v[88:89], s[46:47], v[104:105] op_sel:[0,0,1] op_sel_hi:[1,0,0]
	v_pk_fma_f32 v[104:105], v[88:89], s[46:47], v[104:105] op_sel:[0,0,1] op_sel_hi:[1,0,0] neg_lo:[0,0,1] neg_hi:[0,0,1]
	v_pk_add_f32 v[56:57], v[12:13], v[72:73]
	v_pk_add_f32 v[12:13], v[120:121], v[78:79]
	v_pk_fma_f32 v[72:73], v[2:3], s[38:39], v[10:11]
	v_pk_fma_f32 v[74:75], v[2:3], s[38:39], v[10:11] neg_lo:[1,0,0] neg_hi:[1,0,0]
	v_pk_mul_f32 v[78:79], v[14:15], s[18:19]
	v_mov_b32_e32 v108, v106
	v_mov_b32_e32 v109, v105
	v_pk_add_f32 v[96:97], v[102:103], v[96:97]
	v_mov_b32_e32 v74, v72
	v_pk_fma_f32 v[80:81], v[4:5], s[0:1], v[78:79]
	v_pk_fma_f32 v[82:83], v[4:5], s[0:1], v[78:79] neg_lo:[1,0,0] neg_hi:[1,0,0]
	v_pk_add_f32 v[96:97], v[108:109], v[96:97]
	v_pk_mul_f32 v[114:115], v[84:85], s[18:19] op_sel_hi:[1,0]
	v_mov_b32_e32 v82, v80
	v_pk_add_f32 v[74:75], v[74:75], v[96:97]
	v_pk_fma_f32 v[120:121], v[46:47], s[24:25], v[114:115] op_sel:[0,0,1] op_sel_hi:[1,0,0]
	v_pk_fma_f32 v[114:115], v[46:47], s[24:25], v[114:115] op_sel:[0,0,1] op_sel_hi:[1,0,0] neg_lo:[0,0,1] neg_hi:[0,0,1]
	v_pk_mul_f32 v[128:129], v[8:9], s[44:45] op_sel_hi:[1,0]
	v_pk_add_f32 v[74:75], v[82:83], v[74:75]
	v_mov_b32_e32 v126, v120
	v_mov_b32_e32 v127, v115
	v_pk_fma_f32 v[130:131], v[76:77], s[48:49], v[128:129] op_sel:[0,0,1] op_sel_hi:[1,0,0]
	v_pk_fma_f32 v[128:129], v[76:77], s[48:49], v[128:129] op_sel:[0,0,1] op_sel_hi:[1,0,0] neg_lo:[0,0,1] neg_hi:[0,0,1]
	v_pk_mul_f32 v[134:135], v[6:7], s[26:27] op_sel_hi:[1,0]
	ds_write2_b64 v184, v[12:13], v[74:75] offset0:34 offset1:51
	v_pk_mul_f32 v[12:13], v[18:19], s[20:21]
	v_pk_add_f32 v[126:127], v[44:45], v[126:127]
	v_mov_b32_e32 v132, v130
	v_mov_b32_e32 v133, v129
	v_pk_fma_f32 v[136:137], v[88:89], s[6:7], v[134:135] op_sel:[0,0,1] op_sel_hi:[1,0,0]
	v_pk_fma_f32 v[134:135], v[88:89], s[6:7], v[134:135] op_sel:[0,0,1] op_sel_hi:[1,0,0] neg_lo:[0,0,1] neg_hi:[0,0,1]
	v_pk_mul_f32 v[84:85], v[84:85], s[20:21] op_sel_hi:[1,0]
	v_pk_fma_f32 v[74:75], v[2:3], s[16:17], v[12:13]
	v_pk_fma_f32 v[82:83], v[2:3], s[16:17], v[12:13] neg_lo:[1,0,0] neg_hi:[1,0,0]
	v_pk_mul_f32 v[96:97], v[14:15], s[34:35]
	s_mov_b32 s42, s35
	s_mov_b32 s43, s34
	v_mov_b32_e32 v138, v136
	v_mov_b32_e32 v139, v135
	v_pk_add_f32 v[126:127], v[132:133], v[126:127]
	v_pk_fma_f32 v[140:141], v[46:47], s[28:29], v[84:85] op_sel:[0,0,1] op_sel_hi:[1,0,0]
	v_pk_fma_f32 v[46:47], v[46:47], s[28:29], v[84:85] op_sel:[0,0,1] op_sel_hi:[1,0,0] neg_lo:[0,0,1] neg_hi:[0,0,1]
	v_pk_mul_f32 v[8:9], v[8:9], s[40:41] op_sel_hi:[1,0]
	v_mov_b32_e32 v82, v74
	v_pk_fma_f32 v[102:103], v[4:5], s[42:43], v[96:97]
	v_pk_fma_f32 v[108:109], v[4:5], s[42:43], v[96:97] neg_lo:[1,0,0] neg_hi:[1,0,0]
	v_pk_add_f32 v[126:127], v[138:139], v[126:127]
	v_mov_b32_e32 v85, v47
	v_pk_fma_f32 v[142:143], v[76:77], s[6:7], v[8:9] op_sel:[0,0,1] op_sel_hi:[1,0,0]
	v_pk_fma_f32 v[8:9], v[76:77], s[6:7], v[8:9] op_sel:[0,0,1] op_sel_hi:[1,0,0] neg_lo:[0,0,1] neg_hi:[0,0,1]
	v_pk_mul_f32 v[6:7], v[6:7], s[18:19] op_sel_hi:[1,0]
	v_mov_b32_e32 v47, v141
	v_mov_b32_e32 v108, v102
	v_pk_add_f32 v[82:83], v[82:83], v[126:127]
	v_pk_mul_f32 v[18:19], v[18:19], s[34:35]
	v_mov_b32_e32 v77, v9
	v_pk_fma_f32 v[144:145], v[88:89], s[24:25], v[6:7] op_sel:[0,0,1] op_sel_hi:[1,0,0]
	v_pk_fma_f32 v[6:7], v[88:89], s[24:25], v[6:7] op_sel:[0,0,1] op_sel_hi:[1,0,0] neg_lo:[0,0,1] neg_hi:[0,0,1]
	v_pk_add_f32 v[46:47], v[44:45], v[46:47]
	v_mov_b32_e32 v9, v143
	v_pk_add_f32 v[82:83], v[108:109], v[82:83]
	v_pk_fma_f32 v[108:109], v[2:3], s[42:43], v[18:19]
	v_pk_fma_f32 v[126:127], v[2:3], s[42:43], v[18:19] neg_lo:[1,0,0] neg_hi:[1,0,0]
	v_pk_mul_f32 v[14:15], v[14:15], s[36:37]
	v_mov_b32_e32 v89, v7
	v_pk_fma_f32 v[18:19], v[2:3], s[42:43], v[18:19] neg_lo:[0,0,1] neg_hi:[0,0,1]
	v_mov_b32_e32 v7, v145
	v_pk_add_f32 v[8:9], v[8:9], v[46:47]
	v_pk_fma_f32 v[132:133], v[4:5], s[30:31], v[14:15]
	v_pk_fma_f32 v[138:139], v[4:5], s[30:31], v[14:15] neg_lo:[1,0,0] neg_hi:[1,0,0]
	v_mov_b32_e32 v19, v109
	v_pk_fma_f32 v[14:15], v[4:5], s[30:31], v[14:15] neg_lo:[0,0,1] neg_hi:[0,0,1]
	v_pk_add_f32 v[6:7], v[6:7], v[8:9]
	v_mov_b32_e32 v15, v133
	v_pk_add_f32 v[6:7], v[18:19], v[6:7]
	v_mov_b32_e32 v115, v121
	v_pk_add_f32 v[6:7], v[14:15], v[6:7]
	v_pk_add_f32 v[14:15], v[44:45], v[114:115]
	v_mov_b32_e32 v129, v131
	v_pk_fma_f32 v[8:9], v[2:3], s[16:17], v[12:13] neg_lo:[0,0,1] neg_hi:[0,0,1]
	v_mov_b32_e32 v135, v137
	v_pk_add_f32 v[14:15], v[128:129], v[14:15]
	v_mov_b32_e32 v9, v75
	v_pk_fma_f32 v[12:13], v[4:5], s[42:43], v[96:97] neg_lo:[0,0,1] neg_hi:[0,0,1]
	v_pk_add_f32 v[14:15], v[134:135], v[14:15]
	v_mov_b32_e32 v13, v103
	v_pk_add_f32 v[8:9], v[8:9], v[14:15]
	v_mov_b32_e32 v93, v95
	v_pk_add_f32 v[8:9], v[12:13], v[8:9]
	ds_write2_b64 v184, v[6:7], v[8:9] offset0:102 offset1:119
	v_pk_fma_f32 v[6:7], v[2:3], s[38:39], v[10:11] neg_lo:[0,0,1] neg_hi:[0,0,1]
	v_pk_add_f32 v[10:11], v[44:45], v[92:93]
	v_mov_b32_e32 v99, v101
	v_mov_b32_e32 v105, v107
	v_pk_add_f32 v[10:11], v[98:99], v[10:11]
	v_mov_b32_e32 v7, v73
	v_pk_fma_f32 v[8:9], v[4:5], s[0:1], v[78:79] neg_lo:[0,0,1] neg_hi:[0,0,1]
	v_pk_add_f32 v[10:11], v[104:105], v[10:11]
	v_mov_b32_e32 v84, v140
	v_mov_b32_e32 v9, v81
	v_pk_add_f32 v[6:7], v[6:7], v[10:11]
	v_mov_b32_e32 v123, v125
	v_pk_add_f32 v[84:85], v[44:45], v[84:85]
	;; [unrolled: 2-line block ×5, first 2 shown]
	v_mov_b32_e32 v17, v91
	v_pk_fma_f32 v[2:3], v[2:3], s[22:23], v[110:111] neg_lo:[0,0,1] neg_hi:[0,0,1]
	v_pk_add_f32 v[0:1], v[0:1], v[8:9]
	v_mov_b32_e32 v126, v108
	v_pk_add_f32 v[76:77], v[88:89], v[76:77]
	v_mov_b32_e32 v3, v113
	v_pk_fma_f32 v[4:5], v[4:5], s[6:7], v[116:117] neg_lo:[0,0,1] neg_hi:[0,0,1]
	v_pk_add_f32 v[0:1], v[16:17], v[0:1]
	v_mov_b32_e32 v138, v132
	v_pk_add_f32 v[76:77], v[126:127], v[76:77]
	v_mov_b32_e32 v5, v119
	v_pk_add_f32 v[0:1], v[2:3], v[0:1]
	v_pk_add_f32 v[76:77], v[138:139], v[76:77]
	;; [unrolled: 1-line block ×3, first 2 shown]
	v_add_u32_e32 v47, 0x400, v183
	ds_write2_b64 v184, v[82:83], v[76:77] offset0:68 offset1:85
	ds_write2_b64 v184, v[6:7], v[0:1] offset0:136 offset1:153
	ds_write_b64 v184, v[56:57] offset:1360
	s_waitcnt lgkmcnt(0)
	s_barrier
	ds_read2_b64 v[0:3], v183 offset1:85
	ds_read2_b64 v[16:19], v47 offset0:59 offset1:144
	ds_read2_b64 v[12:15], v71 offset0:118 offset1:203
	;; [unrolled: 1-line block ×3, first 2 shown]
	v_add_u32_e32 v4, 0x1400, v183
	ds_read2_b64 v[4:7], v4 offset0:108 offset1:193
	v_mov_b32_e32 v68, v32
	v_mov_b32_e32 v69, v32
	;; [unrolled: 1-line block ×24, first 2 shown]
	v_add_u32_e32 v46, 0x2a8, v185
	s_and_saveexec_b64 s[0:1], s[2:3]
	s_cbranch_execz .LBB0_19
; %bb.18:
	ds_read2_b64 v[56:59], v47 offset0:42 offset1:229
	ds_read2_b64 v[52:55], v70 offset0:32 offset1:219
	ds_read_b64 v[198:199], v183 offset:7344
.LBB0_19:
	s_or_b64 exec, exec, s[0:1]
	s_waitcnt lgkmcnt(3)
	v_pk_mul_f32 v[32:33], v[32:33], v[16:17]
	s_waitcnt lgkmcnt(2)
	v_pk_mul_f32 v[34:35], v[34:35], v[12:13]
	v_pk_fma_f32 v[70:71], v[68:69], v[16:17], v[32:33] op_sel:[0,0,1] op_sel_hi:[1,1,0]
	v_pk_fma_f32 v[16:17], v[68:69], v[16:17], v[32:33] op_sel:[0,0,1] op_sel_hi:[1,1,0] neg_lo:[0,0,1] neg_hi:[0,0,1]
	s_waitcnt lgkmcnt(1)
	v_pk_mul_f32 v[28:29], v[28:29], v[8:9]
	v_mov_b32_e32 v71, v17
	v_pk_fma_f32 v[16:17], v[66:67], v[12:13], v[34:35] op_sel:[0,0,1] op_sel_hi:[1,1,0]
	v_pk_fma_f32 v[12:13], v[66:67], v[12:13], v[34:35] op_sel:[0,0,1] op_sel_hi:[1,1,0] neg_lo:[0,0,1] neg_hi:[0,0,1]
	s_waitcnt lgkmcnt(0)
	v_pk_mul_f32 v[30:31], v[30:31], v[4:5]
	v_mov_b32_e32 v17, v13
	v_pk_fma_f32 v[12:13], v[64:65], v[8:9], v[28:29] op_sel:[0,0,1] op_sel_hi:[1,1,0]
	v_pk_fma_f32 v[8:9], v[64:65], v[8:9], v[28:29] op_sel:[0,0,1] op_sel_hi:[1,1,0] neg_lo:[0,0,1] neg_hi:[0,0,1]
	s_mov_b32 s6, 0x3f737871
	v_mov_b32_e32 v13, v9
	v_pk_fma_f32 v[8:9], v[62:63], v[4:5], v[30:31] op_sel:[0,0,1] op_sel_hi:[1,1,0]
	v_pk_fma_f32 v[4:5], v[62:63], v[4:5], v[30:31] op_sel:[0,0,1] op_sel_hi:[1,1,0] neg_lo:[0,0,1] neg_hi:[0,0,1]
	v_pk_add_f32 v[28:29], v[16:17], v[12:13]
	v_mov_b32_e32 v9, v5
	v_pk_add_f32 v[30:31], v[70:71], v[8:9] neg_lo:[0,1] neg_hi:[0,1]
	v_pk_add_f32 v[4:5], v[0:1], v[70:71]
	v_pk_fma_f32 v[28:29], v[28:29], 0.5, v[0:1] op_sel_hi:[1,0,1] neg_lo:[1,0,0] neg_hi:[1,0,0]
	v_pk_mul_f32 v[32:33], v[30:31], s[6:7] op_sel_hi:[1,0]
	v_pk_add_f32 v[34:35], v[16:17], v[12:13] neg_lo:[0,1] neg_hi:[0,1]
	s_mov_b32 s16, 0x3f167918
	v_pk_add_f32 v[64:65], v[70:71], v[16:17] neg_lo:[0,1] neg_hi:[0,1]
	v_pk_add_f32 v[66:67], v[8:9], v[12:13] neg_lo:[0,1] neg_hi:[0,1]
	v_pk_add_f32 v[4:5], v[4:5], v[16:17]
	v_pk_mul_f32 v[62:63], v[34:35], s[16:17] op_sel_hi:[1,0]
	v_pk_add_f32 v[64:65], v[64:65], v[66:67]
	v_pk_add_f32 v[66:67], v[28:29], v[32:33] op_sel:[0,1] op_sel_hi:[1,0] neg_lo:[0,1] neg_hi:[0,1]
	v_pk_add_f32 v[4:5], v[4:5], v[12:13]
	v_pk_add_f32 v[28:29], v[28:29], v[32:33] op_sel:[0,1] op_sel_hi:[1,0]
	v_pk_add_f32 v[32:33], v[66:67], v[62:63] op_sel:[0,1] op_sel_hi:[1,0] neg_lo:[0,1] neg_hi:[0,1]
	v_pk_add_f32 v[66:67], v[70:71], v[8:9]
	v_pk_add_f32 v[4:5], v[4:5], v[8:9]
	v_pk_fma_f32 v[0:1], v[66:67], 0.5, v[0:1] op_sel_hi:[1,0,1] neg_lo:[1,0,0] neg_hi:[1,0,0]
	v_pk_add_f32 v[16:17], v[16:17], v[70:71] neg_lo:[0,1] neg_hi:[0,1]
	v_pk_add_f32 v[8:9], v[12:13], v[8:9] neg_lo:[0,1] neg_hi:[0,1]
	v_pk_mul_f32 v[12:13], v[34:35], s[6:7] op_sel_hi:[1,0]
	v_pk_add_f32 v[8:9], v[16:17], v[8:9]
	v_pk_mul_f32 v[16:17], v[30:31], s[16:17] op_sel_hi:[1,0]
	v_pk_add_f32 v[30:31], v[0:1], v[12:13] op_sel:[0,1] op_sel_hi:[1,0]
	v_pk_add_f32 v[0:1], v[0:1], v[12:13] op_sel:[0,1] op_sel_hi:[1,0] neg_lo:[0,1] neg_hi:[0,1]
	v_pk_add_f32 v[28:29], v[28:29], v[62:63] op_sel:[0,1] op_sel_hi:[1,0]
	v_pk_add_f32 v[0:1], v[0:1], v[16:17] op_sel:[0,1] op_sel_hi:[1,0]
	v_pk_add_f32 v[12:13], v[30:31], v[16:17] op_sel:[0,1] op_sel_hi:[1,0] neg_lo:[0,1] neg_hi:[0,1]
	s_mov_b32 s0, 0x3e9e377a
	v_mov_b32_e32 v62, v32
	v_mov_b32_e32 v63, v29
	v_mov_b32_e32 v16, v12
	v_mov_b32_e32 v17, v1
	v_pk_fma_f32 v[62:63], v[64:65], s[0:1], v[62:63] op_sel_hi:[1,0,1]
	v_pk_fma_f32 v[16:17], v[8:9], s[0:1], v[16:17] op_sel_hi:[1,0,1]
	v_add_u32_e32 v1, 0x400, v182
	ds_write2_b64 v1, v[62:63], v[16:17] offset0:59 offset1:246
	v_mov_b32_e32 v1, v13
	v_mov_b32_e32 v29, v33
	v_pk_mul_f32 v[40:41], v[40:41], v[18:19]
	v_pk_fma_f32 v[0:1], v[8:9], s[0:1], v[0:1] op_sel_hi:[1,0,1]
	v_pk_fma_f32 v[8:9], v[64:65], s[0:1], v[28:29] op_sel_hi:[1,0,1]
	v_add_u32_e32 v12, 0x1000, v182
	v_pk_mul_f32 v[42:43], v[42:43], v[14:15]
	ds_write2_b64 v12, v[0:1], v[8:9] offset0:49 offset1:236
	v_pk_fma_f32 v[0:1], v[60:61], v[18:19], v[40:41] op_sel:[0,0,1] op_sel_hi:[1,1,0]
	v_pk_fma_f32 v[8:9], v[60:61], v[18:19], v[40:41] op_sel:[0,0,1] op_sel_hi:[1,1,0] neg_lo:[0,0,1] neg_hi:[0,0,1]
	v_pk_mul_f32 v[36:37], v[36:37], v[10:11]
	v_mov_b32_e32 v1, v9
	v_pk_fma_f32 v[8:9], v[50:51], v[14:15], v[42:43] op_sel:[0,0,1] op_sel_hi:[1,1,0]
	v_pk_fma_f32 v[12:13], v[50:51], v[14:15], v[42:43] op_sel:[0,0,1] op_sel_hi:[1,1,0] neg_lo:[0,0,1] neg_hi:[0,0,1]
	v_pk_mul_f32 v[38:39], v[38:39], v[6:7]
	v_mov_b32_e32 v9, v13
	v_pk_fma_f32 v[12:13], v[48:49], v[10:11], v[36:37] op_sel:[0,0,1] op_sel_hi:[1,1,0]
	v_pk_fma_f32 v[10:11], v[48:49], v[10:11], v[36:37] op_sel:[0,0,1] op_sel_hi:[1,1,0] neg_lo:[0,0,1] neg_hi:[0,0,1]
	v_pk_add_f32 v[28:29], v[0:1], v[8:9] neg_lo:[0,1] neg_hi:[0,1]
	v_mov_b32_e32 v13, v11
	v_pk_fma_f32 v[10:11], v[44:45], v[6:7], v[38:39] op_sel:[0,0,1] op_sel_hi:[1,1,0]
	v_pk_fma_f32 v[6:7], v[44:45], v[6:7], v[38:39] op_sel:[0,0,1] op_sel_hi:[1,1,0] neg_lo:[0,0,1] neg_hi:[0,0,1]
	v_pk_add_f32 v[16:17], v[8:9], v[12:13] neg_lo:[0,1] neg_hi:[0,1]
	v_mov_b32_e32 v11, v7
	v_pk_add_f32 v[6:7], v[2:3], v[0:1]
	v_pk_add_f32 v[30:31], v[10:11], v[12:13] neg_lo:[0,1] neg_hi:[0,1]
	v_pk_add_f32 v[6:7], v[6:7], v[8:9]
	v_pk_mul_f32 v[18:19], v[16:17], s[16:17] op_sel_hi:[1,0]
	v_pk_add_f32 v[6:7], v[6:7], v[12:13]
	v_pk_add_f32 v[28:29], v[28:29], v[30:31]
	;; [unrolled: 1-line block ×3, first 2 shown]
	ds_write2_b64 v182, v[4:5], v[6:7] offset1:85
	v_pk_add_f32 v[4:5], v[8:9], v[12:13]
	v_pk_add_f32 v[6:7], v[0:1], v[10:11] neg_lo:[0,1] neg_hi:[0,1]
	v_pk_fma_f32 v[4:5], v[4:5], 0.5, v[2:3] op_sel_hi:[1,0,1] neg_lo:[1,0,0] neg_hi:[1,0,0]
	v_pk_mul_f32 v[14:15], v[6:7], s[6:7] op_sel_hi:[1,0]
	v_pk_mul_f32 v[6:7], v[6:7], s[16:17] op_sel_hi:[1,0]
	v_pk_add_f32 v[30:31], v[4:5], v[14:15] op_sel:[0,1] op_sel_hi:[1,0] neg_lo:[0,1] neg_hi:[0,1]
	v_pk_add_f32 v[4:5], v[4:5], v[14:15] op_sel:[0,1] op_sel_hi:[1,0]
	v_pk_add_f32 v[14:15], v[30:31], v[18:19] op_sel:[0,1] op_sel_hi:[1,0] neg_lo:[0,1] neg_hi:[0,1]
	v_pk_add_f32 v[30:31], v[0:1], v[10:11]
	v_pk_add_f32 v[0:1], v[8:9], v[0:1] neg_lo:[0,1] neg_hi:[0,1]
	v_pk_add_f32 v[8:9], v[12:13], v[10:11] neg_lo:[0,1] neg_hi:[0,1]
	v_pk_fma_f32 v[2:3], v[30:31], 0.5, v[2:3] op_sel_hi:[1,0,1] neg_lo:[1,0,0] neg_hi:[1,0,0]
	v_pk_add_f32 v[0:1], v[0:1], v[8:9]
	v_pk_mul_f32 v[8:9], v[16:17], s[6:7] op_sel_hi:[1,0]
	v_pk_add_f32 v[4:5], v[4:5], v[18:19] op_sel:[0,1] op_sel_hi:[1,0]
	v_pk_add_f32 v[10:11], v[2:3], v[8:9] op_sel:[0,1] op_sel_hi:[1,0]
	v_pk_add_f32 v[2:3], v[2:3], v[8:9] op_sel:[0,1] op_sel_hi:[1,0] neg_lo:[0,1] neg_hi:[0,1]
	v_mov_b32_e32 v18, v14
	v_pk_add_f32 v[2:3], v[2:3], v[6:7] op_sel:[0,1] op_sel_hi:[1,0]
	v_pk_add_f32 v[6:7], v[10:11], v[6:7] op_sel:[0,1] op_sel_hi:[1,0] neg_lo:[0,1] neg_hi:[0,1]
	v_mov_b32_e32 v19, v5
	v_mov_b32_e32 v8, v6
	;; [unrolled: 1-line block ×3, first 2 shown]
	v_pk_fma_f32 v[18:19], v[28:29], s[0:1], v[18:19] op_sel_hi:[1,0,1]
	v_pk_fma_f32 v[8:9], v[0:1], s[0:1], v[8:9] op_sel_hi:[1,0,1]
	v_add_u32_e32 v3, 0x400, v46
	ds_write2_b64 v3, v[18:19], v[8:9] offset0:59 offset1:246
	v_mov_b32_e32 v3, v7
	v_mov_b32_e32 v5, v15
	v_pk_fma_f32 v[0:1], v[0:1], s[0:1], v[2:3] op_sel_hi:[1,0,1]
	v_pk_fma_f32 v[2:3], v[28:29], s[0:1], v[4:5] op_sel_hi:[1,0,1]
	v_add_u32_e32 v4, 0x1000, v46
	ds_write2_b64 v4, v[0:1], v[2:3] offset0:49 offset1:236
	v_accvgpr_read_b32 v0, a0
	v_accvgpr_read_b32 v1, a1
	v_lshl_add_u32 v0, v1, 3, v0
	s_and_saveexec_b64 s[18:19], s[2:3]
	s_cbranch_execz .LBB0_21
; %bb.20:
	v_pk_mul_f32 v[2:3], v[26:27], v[52:53] op_sel:[0,1]
	v_pk_mul_f32 v[4:5], v[24:25], v[58:59] op_sel:[0,1]
	v_pk_fma_f32 v[10:11], v[26:27], v[52:53], v[2:3] op_sel:[0,0,1] op_sel_hi:[1,1,0]
	v_pk_fma_f32 v[2:3], v[26:27], v[52:53], v[2:3] op_sel:[0,0,1] op_sel_hi:[1,0,0] neg_lo:[1,0,0] neg_hi:[1,0,0]
	v_pk_mul_f32 v[6:7], v[20:21], v[54:55] op_sel:[0,1]
	v_mov_b32_e32 v11, v3
	v_pk_fma_f32 v[2:3], v[24:25], v[58:59], v[4:5] op_sel:[0,0,1] op_sel_hi:[1,1,0]
	v_pk_fma_f32 v[4:5], v[24:25], v[58:59], v[4:5] op_sel:[0,0,1] op_sel_hi:[1,0,0] neg_lo:[1,0,0] neg_hi:[1,0,0]
	v_pk_mul_f32 v[8:9], v[22:23], v[198:199] op_sel:[0,1]
	v_mov_b32_e32 v3, v5
	v_pk_fma_f32 v[4:5], v[20:21], v[54:55], v[6:7] op_sel:[0,0,1] op_sel_hi:[1,1,0]
	v_pk_fma_f32 v[6:7], v[20:21], v[54:55], v[6:7] op_sel:[0,0,1] op_sel_hi:[1,0,0] neg_lo:[1,0,0] neg_hi:[1,0,0]
	v_add_u32_e32 v1, 0x400, v0
	v_mov_b32_e32 v5, v7
	v_pk_fma_f32 v[6:7], v[22:23], v[198:199], v[8:9] op_sel:[0,0,1] op_sel_hi:[1,1,0]
	v_pk_fma_f32 v[8:9], v[22:23], v[198:199], v[8:9] op_sel:[0,0,1] op_sel_hi:[1,0,0] neg_lo:[1,0,0] neg_hi:[1,0,0]
	v_pk_add_f32 v[16:17], v[10:11], v[4:5]
	v_mov_b32_e32 v7, v9
	v_pk_add_f32 v[14:15], v[2:3], v[6:7] neg_lo:[0,1] neg_hi:[0,1]
	v_pk_add_f32 v[12:13], v[10:11], v[4:5] neg_lo:[0,1] neg_hi:[0,1]
	v_pk_fma_f32 v[16:17], v[16:17], 0.5, v[56:57] op_sel_hi:[1,0,1] neg_lo:[1,0,0] neg_hi:[1,0,0]
	v_pk_mul_f32 v[18:19], v[14:15], s[6:7] op_sel_hi:[1,0]
	v_pk_add_f32 v[22:23], v[2:3], v[10:11] neg_lo:[0,1] neg_hi:[0,1]
	v_pk_add_f32 v[24:25], v[6:7], v[4:5] neg_lo:[0,1] neg_hi:[0,1]
	v_pk_add_f32 v[8:9], v[56:57], v[2:3]
	v_pk_mul_f32 v[20:21], v[12:13], s[16:17] op_sel_hi:[1,0]
	v_pk_add_f32 v[22:23], v[22:23], v[24:25]
	v_pk_add_f32 v[24:25], v[16:17], v[18:19] op_sel:[0,1] op_sel_hi:[1,0] neg_lo:[0,1] neg_hi:[0,1]
	v_pk_add_f32 v[16:17], v[16:17], v[18:19] op_sel:[0,1] op_sel_hi:[1,0]
	v_pk_add_f32 v[8:9], v[8:9], v[10:11]
	v_pk_add_f32 v[16:17], v[16:17], v[20:21] op_sel:[0,1] op_sel_hi:[1,0]
	v_pk_add_f32 v[18:19], v[24:25], v[20:21] op_sel:[0,1] op_sel_hi:[1,0] neg_lo:[0,1] neg_hi:[0,1]
	v_pk_add_f32 v[8:9], v[8:9], v[4:5]
	v_mov_b32_e32 v20, v18
	v_mov_b32_e32 v21, v17
	v_pk_add_f32 v[8:9], v[8:9], v[6:7]
	v_pk_fma_f32 v[20:21], v[22:23], s[0:1], v[20:21] op_sel_hi:[1,0,1]
	ds_write2_b64 v1, v[8:9], v[20:21] offset0:42 offset1:229
	v_pk_add_f32 v[8:9], v[10:11], v[2:3] neg_lo:[0,1] neg_hi:[0,1]
	v_pk_add_f32 v[2:3], v[2:3], v[6:7]
	v_pk_add_f32 v[4:5], v[4:5], v[6:7] neg_lo:[0,1] neg_hi:[0,1]
	v_pk_fma_f32 v[2:3], v[2:3], 0.5, v[56:57] op_sel_hi:[1,0,1] neg_lo:[1,0,0] neg_hi:[1,0,0]
	v_pk_mul_f32 v[6:7], v[12:13], s[6:7] op_sel_hi:[1,0]
	v_pk_add_f32 v[4:5], v[8:9], v[4:5]
	v_pk_mul_f32 v[8:9], v[14:15], s[16:17] op_sel_hi:[1,0]
	v_pk_add_f32 v[10:11], v[2:3], v[6:7] op_sel:[0,1] op_sel_hi:[1,0] neg_lo:[0,1] neg_hi:[0,1]
	v_pk_add_f32 v[2:3], v[2:3], v[6:7] op_sel:[0,1] op_sel_hi:[1,0]
	v_pk_add_f32 v[6:7], v[10:11], v[8:9] op_sel:[0,1] op_sel_hi:[1,0]
	v_pk_add_f32 v[2:3], v[2:3], v[8:9] op_sel:[0,1] op_sel_hi:[1,0] neg_lo:[0,1] neg_hi:[0,1]
	v_mov_b32_e32 v8, v6
	v_mov_b32_e32 v9, v3
	v_mov_b32_e32 v3, v7
	v_pk_fma_f32 v[8:9], v[4:5], s[0:1], v[8:9] op_sel_hi:[1,0,1]
	v_pk_fma_f32 v[2:3], v[4:5], s[0:1], v[2:3] op_sel_hi:[1,0,1]
	v_add_u32_e32 v1, 0x1000, v0
	v_mov_b32_e32 v17, v19
	ds_write2_b64 v1, v[2:3], v[8:9] offset0:32 offset1:219
	v_pk_fma_f32 v[2:3], v[22:23], s[0:1], v[16:17] op_sel_hi:[1,0,1]
	ds_write_b64 v0, v[2:3] offset:7344
.LBB0_21:
	s_or_b64 exec, exec, s[18:19]
	s_and_b64 s[0:1], exec, s[4:5]
	v_accvgpr_read_b32 v18, a2
	v_accvgpr_read_b32 v20, a4
	s_waitcnt lgkmcnt(0)
	s_barrier
	s_mov_b64 exec, s[0:1]
	s_cbranch_execz .LBB0_23
; %bb.22:
	v_accvgpr_read_b32 v16, a0
	global_load_dwordx2 v[2:3], v16, s[12:13]
	ds_read_b64 v[8:9], v182
	v_mad_u64_u32 v[6:7], s[0:1], s10, v20, 0
	v_mad_u64_u32 v[10:11], s[2:3], s8, v18, 0
	v_mov_b32_e32 v12, v7
	v_mov_b32_e32 v14, v11
	v_mad_u64_u32 v[12:13], s[2:3], s11, v20, v[12:13]
	v_mov_b32_e32 v4, s14
	v_mov_b32_e32 v5, s15
	;; [unrolled: 3-line block ×3, first 2 shown]
	v_lshl_add_u64 v[4:5], v[6:7], 3, v[4:5]
	s_mov_b32 s0, 0xfa401186
	v_lshl_add_u64 v[6:7], v[10:11], 3, v[4:5]
	s_mov_b32 s1, 0x3f5185e2
	v_mov_b32_e32 v12, 0x1b8
	s_mul_i32 s2, s9, 0x1b8
	v_mov_b32_e32 v17, 0
	s_movk_i32 s3, 0x1000
	s_waitcnt vmcnt(0) lgkmcnt(0)
	v_mul_f32_e32 v1, v9, v3
	v_mul_f32_e32 v3, v8, v3
	v_fmac_f32_e32 v1, v8, v2
	v_fma_f32 v4, v2, v9, -v3
	v_cvt_f64_f32_e32 v[2:3], v1
	v_cvt_f64_f32_e32 v[4:5], v4
	v_mul_f64 v[2:3], v[2:3], s[0:1]
	v_mul_f64 v[4:5], v[4:5], s[0:1]
	v_cvt_f32_f64_e32 v2, v[2:3]
	v_cvt_f32_f64_e32 v3, v[4:5]
	global_store_dwordx2 v[6:7], v[2:3], off
	global_load_dwordx2 v[8:9], v16, s[12:13] offset:440
	ds_read2_b64 v[2:5], v0 offset0:55 offset1:110
	v_mad_u64_u32 v[6:7], s[4:5], s8, v12, v[6:7]
	v_add_u32_e32 v7, s2, v7
	s_waitcnt vmcnt(0) lgkmcnt(0)
	v_mul_f32_e32 v1, v3, v9
	v_mul_f32_e32 v9, v2, v9
	v_fmac_f32_e32 v1, v2, v8
	v_fma_f32 v8, v8, v3, -v9
	v_cvt_f64_f32_e32 v[2:3], v1
	v_cvt_f64_f32_e32 v[8:9], v8
	v_mul_f64 v[2:3], v[2:3], s[0:1]
	v_mul_f64 v[8:9], v[8:9], s[0:1]
	v_cvt_f32_f64_e32 v2, v[2:3]
	v_cvt_f32_f64_e32 v3, v[8:9]
	global_store_dwordx2 v[6:7], v[2:3], off
	global_load_dwordx2 v[2:3], v16, s[12:13] offset:880
	v_mad_u64_u32 v[6:7], s[4:5], s8, v12, v[6:7]
	v_add_u32_e32 v7, s2, v7
	s_waitcnt vmcnt(0)
	v_mul_f32_e32 v1, v5, v3
	v_mul_f32_e32 v3, v4, v3
	v_fmac_f32_e32 v1, v4, v2
	v_fma_f32 v4, v2, v5, -v3
	v_cvt_f64_f32_e32 v[2:3], v1
	v_cvt_f64_f32_e32 v[4:5], v4
	v_mul_f64 v[2:3], v[2:3], s[0:1]
	v_mul_f64 v[4:5], v[4:5], s[0:1]
	v_cvt_f32_f64_e32 v2, v[2:3]
	v_cvt_f32_f64_e32 v3, v[4:5]
	global_store_dwordx2 v[6:7], v[2:3], off
	global_load_dwordx2 v[8:9], v16, s[12:13] offset:1320
	ds_read2_b64 v[2:5], v0 offset0:165 offset1:220
	v_mad_u64_u32 v[6:7], s[4:5], s8, v12, v[6:7]
	v_add_u32_e32 v7, s2, v7
	s_waitcnt vmcnt(0) lgkmcnt(0)
	v_mul_f32_e32 v1, v3, v9
	v_mul_f32_e32 v9, v2, v9
	v_fmac_f32_e32 v1, v2, v8
	v_fma_f32 v8, v8, v3, -v9
	v_cvt_f64_f32_e32 v[2:3], v1
	v_cvt_f64_f32_e32 v[8:9], v8
	v_mul_f64 v[2:3], v[2:3], s[0:1]
	v_mul_f64 v[8:9], v[8:9], s[0:1]
	v_cvt_f32_f64_e32 v2, v[2:3]
	v_cvt_f32_f64_e32 v3, v[8:9]
	global_store_dwordx2 v[6:7], v[2:3], off
	global_load_dwordx2 v[2:3], v16, s[12:13] offset:1760
	v_mad_u64_u32 v[6:7], s[4:5], s8, v12, v[6:7]
	v_add_u32_e32 v7, s2, v7
	s_waitcnt vmcnt(0)
	v_mul_f32_e32 v1, v5, v3
	v_mul_f32_e32 v3, v4, v3
	v_fmac_f32_e32 v1, v4, v2
	v_fma_f32 v4, v2, v5, -v3
	v_cvt_f64_f32_e32 v[2:3], v1
	v_cvt_f64_f32_e32 v[4:5], v4
	v_mul_f64 v[2:3], v[2:3], s[0:1]
	v_mul_f64 v[4:5], v[4:5], s[0:1]
	v_cvt_f32_f64_e32 v2, v[2:3]
	v_cvt_f32_f64_e32 v3, v[4:5]
	global_store_dwordx2 v[6:7], v[2:3], off
	global_load_dwordx2 v[8:9], v16, s[12:13] offset:2200
	v_add_u32_e32 v1, 0x800, v0
	ds_read2_b64 v[2:5], v1 offset0:19 offset1:74
	v_mad_u64_u32 v[6:7], s[4:5], s8, v12, v[6:7]
	v_add_u32_e32 v7, s2, v7
	s_waitcnt vmcnt(0) lgkmcnt(0)
	v_mul_f32_e32 v10, v3, v9
	v_mul_f32_e32 v9, v2, v9
	v_fmac_f32_e32 v10, v2, v8
	v_fma_f32 v8, v8, v3, -v9
	v_cvt_f64_f32_e32 v[2:3], v10
	v_cvt_f64_f32_e32 v[8:9], v8
	v_mul_f64 v[2:3], v[2:3], s[0:1]
	v_mul_f64 v[8:9], v[8:9], s[0:1]
	v_cvt_f32_f64_e32 v2, v[2:3]
	v_cvt_f32_f64_e32 v3, v[8:9]
	global_store_dwordx2 v[6:7], v[2:3], off
	global_load_dwordx2 v[2:3], v16, s[12:13] offset:2640
	v_mad_u64_u32 v[6:7], s[4:5], s8, v12, v[6:7]
	v_add_u32_e32 v7, s2, v7
	v_lshl_add_u64 v[10:11], s[12:13], 0, v[16:17]
	v_add_co_u32_e32 v10, vcc, s3, v10
	s_waitcnt vmcnt(0)
	v_mul_f32_e32 v8, v5, v3
	v_mul_f32_e32 v3, v4, v3
	v_fmac_f32_e32 v8, v4, v2
	v_fma_f32 v4, v2, v5, -v3
	v_cvt_f64_f32_e32 v[2:3], v8
	v_cvt_f64_f32_e32 v[4:5], v4
	v_mul_f64 v[2:3], v[2:3], s[0:1]
	v_mul_f64 v[4:5], v[4:5], s[0:1]
	v_cvt_f32_f64_e32 v2, v[2:3]
	v_cvt_f32_f64_e32 v3, v[4:5]
	global_store_dwordx2 v[6:7], v[2:3], off
	global_load_dwordx2 v[8:9], v16, s[12:13] offset:3080
	ds_read2_b64 v[2:5], v1 offset0:129 offset1:184
	v_mad_u64_u32 v[6:7], s[4:5], s8, v12, v[6:7]
	v_add_u32_e32 v7, s2, v7
	v_addc_co_u32_e32 v11, vcc, 0, v11, vcc
	s_waitcnt vmcnt(0) lgkmcnt(0)
	v_mul_f32_e32 v1, v3, v9
	v_mul_f32_e32 v9, v2, v9
	v_fmac_f32_e32 v1, v2, v8
	v_fma_f32 v8, v8, v3, -v9
	v_cvt_f64_f32_e32 v[2:3], v1
	v_cvt_f64_f32_e32 v[8:9], v8
	v_mul_f64 v[2:3], v[2:3], s[0:1]
	v_mul_f64 v[8:9], v[8:9], s[0:1]
	v_cvt_f32_f64_e32 v2, v[2:3]
	v_cvt_f32_f64_e32 v3, v[8:9]
	global_store_dwordx2 v[6:7], v[2:3], off
	global_load_dwordx2 v[2:3], v16, s[12:13] offset:3520
	v_mad_u64_u32 v[6:7], s[4:5], s8, v12, v[6:7]
	v_add_u32_e32 v7, s2, v7
	s_waitcnt vmcnt(0)
	v_mul_f32_e32 v1, v5, v3
	v_mul_f32_e32 v3, v4, v3
	v_fmac_f32_e32 v1, v4, v2
	v_fma_f32 v4, v2, v5, -v3
	v_cvt_f64_f32_e32 v[2:3], v1
	v_cvt_f64_f32_e32 v[4:5], v4
	v_mul_f64 v[2:3], v[2:3], s[0:1]
	v_mul_f64 v[4:5], v[4:5], s[0:1]
	v_cvt_f32_f64_e32 v2, v[2:3]
	v_cvt_f32_f64_e32 v3, v[4:5]
	global_store_dwordx2 v[6:7], v[2:3], off
	global_load_dwordx2 v[8:9], v16, s[12:13] offset:3960
	v_add_u32_e32 v1, 0xc00, v0
	ds_read2_b64 v[2:5], v1 offset0:111 offset1:166
	v_mad_u64_u32 v[6:7], s[4:5], s8, v12, v[6:7]
	v_add_u32_e32 v7, s2, v7
	s_waitcnt vmcnt(0) lgkmcnt(0)
	v_mul_f32_e32 v1, v3, v9
	v_mul_f32_e32 v9, v2, v9
	v_fmac_f32_e32 v1, v2, v8
	v_fma_f32 v8, v8, v3, -v9
	v_cvt_f64_f32_e32 v[2:3], v1
	v_cvt_f64_f32_e32 v[8:9], v8
	v_mul_f64 v[2:3], v[2:3], s[0:1]
	v_mul_f64 v[8:9], v[8:9], s[0:1]
	v_cvt_f32_f64_e32 v2, v[2:3]
	v_cvt_f32_f64_e32 v3, v[8:9]
	global_store_dwordx2 v[6:7], v[2:3], off
	global_load_dwordx2 v[2:3], v[10:11], off offset:304
	v_mad_u64_u32 v[6:7], s[4:5], s8, v12, v[6:7]
	v_add_u32_e32 v7, s2, v7
	s_waitcnt vmcnt(0)
	v_mul_f32_e32 v1, v5, v3
	v_mul_f32_e32 v3, v4, v3
	v_fmac_f32_e32 v1, v4, v2
	v_fma_f32 v4, v2, v5, -v3
	v_cvt_f64_f32_e32 v[2:3], v1
	v_cvt_f64_f32_e32 v[4:5], v4
	v_mul_f64 v[2:3], v[2:3], s[0:1]
	v_mul_f64 v[4:5], v[4:5], s[0:1]
	v_cvt_f32_f64_e32 v2, v[2:3]
	v_cvt_f32_f64_e32 v3, v[4:5]
	global_store_dwordx2 v[6:7], v[2:3], off
	global_load_dwordx2 v[8:9], v[10:11], off offset:744
	v_add_u32_e32 v1, 0x1000, v0
	ds_read2_b64 v[2:5], v1 offset0:93 offset1:148
	v_mad_u64_u32 v[6:7], s[4:5], s8, v12, v[6:7]
	v_add_u32_e32 v7, s2, v7
	s_waitcnt vmcnt(0) lgkmcnt(0)
	v_mul_f32_e32 v1, v3, v9
	v_mul_f32_e32 v9, v2, v9
	v_fmac_f32_e32 v1, v2, v8
	v_fma_f32 v8, v8, v3, -v9
	v_cvt_f64_f32_e32 v[2:3], v1
	v_cvt_f64_f32_e32 v[8:9], v8
	v_mul_f64 v[2:3], v[2:3], s[0:1]
	v_mul_f64 v[8:9], v[8:9], s[0:1]
	v_cvt_f32_f64_e32 v2, v[2:3]
	v_cvt_f32_f64_e32 v3, v[8:9]
	global_store_dwordx2 v[6:7], v[2:3], off
	global_load_dwordx2 v[2:3], v[10:11], off offset:1184
	v_mad_u64_u32 v[6:7], s[4:5], s8, v12, v[6:7]
	v_add_u32_e32 v7, s2, v7
	s_waitcnt vmcnt(0)
	v_mul_f32_e32 v1, v5, v3
	v_mul_f32_e32 v3, v4, v3
	v_fmac_f32_e32 v1, v4, v2
	v_fma_f32 v4, v2, v5, -v3
	v_cvt_f64_f32_e32 v[2:3], v1
	v_cvt_f64_f32_e32 v[4:5], v4
	v_mul_f64 v[2:3], v[2:3], s[0:1]
	v_mul_f64 v[4:5], v[4:5], s[0:1]
	v_cvt_f32_f64_e32 v2, v[2:3]
	v_cvt_f32_f64_e32 v3, v[4:5]
	global_store_dwordx2 v[6:7], v[2:3], off
	global_load_dwordx2 v[8:9], v[10:11], off offset:1624
	v_add_u32_e32 v1, 0x1400, v0
	ds_read2_b64 v[2:5], v1 offset0:75 offset1:130
	v_mad_u64_u32 v[6:7], s[4:5], s8, v12, v[6:7]
	v_add_u32_e32 v7, s2, v7
	v_add_u32_e32 v0, 0x1800, v0
	s_waitcnt vmcnt(0) lgkmcnt(0)
	v_mul_f32_e32 v1, v3, v9
	v_mul_f32_e32 v9, v2, v9
	v_fmac_f32_e32 v1, v2, v8
	v_fma_f32 v8, v8, v3, -v9
	v_cvt_f64_f32_e32 v[2:3], v1
	v_cvt_f64_f32_e32 v[8:9], v8
	v_mul_f64 v[2:3], v[2:3], s[0:1]
	v_mul_f64 v[8:9], v[8:9], s[0:1]
	v_cvt_f32_f64_e32 v2, v[2:3]
	v_cvt_f32_f64_e32 v3, v[8:9]
	global_store_dwordx2 v[6:7], v[2:3], off
	global_load_dwordx2 v[2:3], v[10:11], off offset:2064
	v_mad_u64_u32 v[6:7], s[4:5], s8, v12, v[6:7]
	v_add_u32_e32 v7, s2, v7
	s_waitcnt vmcnt(0)
	v_mul_f32_e32 v1, v5, v3
	v_mul_f32_e32 v3, v4, v3
	v_fmac_f32_e32 v1, v4, v2
	v_fma_f32 v4, v2, v5, -v3
	v_cvt_f64_f32_e32 v[2:3], v1
	v_cvt_f64_f32_e32 v[4:5], v4
	v_mul_f64 v[2:3], v[2:3], s[0:1]
	v_mul_f64 v[4:5], v[4:5], s[0:1]
	v_cvt_f32_f64_e32 v2, v[2:3]
	v_cvt_f32_f64_e32 v3, v[4:5]
	global_store_dwordx2 v[6:7], v[2:3], off
	global_load_dwordx2 v[4:5], v[10:11], off offset:2504
	ds_read2_b64 v[0:3], v0 offset0:57 offset1:112
	v_mad_u64_u32 v[6:7], s[4:5], s8, v12, v[6:7]
	v_add_u32_e32 v7, s2, v7
	s_waitcnt vmcnt(0) lgkmcnt(0)
	v_mul_f32_e32 v8, v1, v5
	v_mul_f32_e32 v5, v0, v5
	v_fmac_f32_e32 v8, v0, v4
	v_fma_f32 v4, v4, v1, -v5
	v_cvt_f64_f32_e32 v[0:1], v8
	v_cvt_f64_f32_e32 v[4:5], v4
	v_mul_f64 v[0:1], v[0:1], s[0:1]
	v_mul_f64 v[4:5], v[4:5], s[0:1]
	v_cvt_f32_f64_e32 v0, v[0:1]
	v_cvt_f32_f64_e32 v1, v[4:5]
	global_store_dwordx2 v[6:7], v[0:1], off
	global_load_dwordx2 v[0:1], v[10:11], off offset:2944
	v_mad_u64_u32 v[4:5], s[4:5], s8, v12, v[6:7]
	v_add_u32_e32 v5, s2, v5
	s_waitcnt vmcnt(0)
	v_mul_f32_e32 v6, v3, v1
	v_mul_f32_e32 v1, v2, v1
	v_fmac_f32_e32 v6, v2, v0
	v_fma_f32 v2, v0, v3, -v1
	v_cvt_f64_f32_e32 v[0:1], v6
	v_cvt_f64_f32_e32 v[2:3], v2
	v_mul_f64 v[0:1], v[0:1], s[0:1]
	v_mul_f64 v[2:3], v[2:3], s[0:1]
	v_cvt_f32_f64_e32 v0, v[0:1]
	v_cvt_f32_f64_e32 v1, v[2:3]
	global_store_dwordx2 v[4:5], v[0:1], off
.LBB0_23:
	s_endpgm
	.section	.rodata,"a",@progbits
	.p2align	6, 0x0
	.amdhsa_kernel bluestein_single_fwd_len935_dim1_sp_op_CI_CI
		.amdhsa_group_segment_fixed_size 22440
		.amdhsa_private_segment_fixed_size 0
		.amdhsa_kernarg_size 104
		.amdhsa_user_sgpr_count 2
		.amdhsa_user_sgpr_dispatch_ptr 0
		.amdhsa_user_sgpr_queue_ptr 0
		.amdhsa_user_sgpr_kernarg_segment_ptr 1
		.amdhsa_user_sgpr_dispatch_id 0
		.amdhsa_user_sgpr_kernarg_preload_length 0
		.amdhsa_user_sgpr_kernarg_preload_offset 0
		.amdhsa_user_sgpr_private_segment_size 0
		.amdhsa_uses_dynamic_stack 0
		.amdhsa_enable_private_segment 0
		.amdhsa_system_sgpr_workgroup_id_x 1
		.amdhsa_system_sgpr_workgroup_id_y 0
		.amdhsa_system_sgpr_workgroup_id_z 0
		.amdhsa_system_sgpr_workgroup_info 0
		.amdhsa_system_vgpr_workitem_id 0
		.amdhsa_next_free_vgpr 316
		.amdhsa_next_free_sgpr 80
		.amdhsa_accum_offset 256
		.amdhsa_reserve_vcc 1
		.amdhsa_float_round_mode_32 0
		.amdhsa_float_round_mode_16_64 0
		.amdhsa_float_denorm_mode_32 3
		.amdhsa_float_denorm_mode_16_64 3
		.amdhsa_dx10_clamp 1
		.amdhsa_ieee_mode 1
		.amdhsa_fp16_overflow 0
		.amdhsa_tg_split 0
		.amdhsa_exception_fp_ieee_invalid_op 0
		.amdhsa_exception_fp_denorm_src 0
		.amdhsa_exception_fp_ieee_div_zero 0
		.amdhsa_exception_fp_ieee_overflow 0
		.amdhsa_exception_fp_ieee_underflow 0
		.amdhsa_exception_fp_ieee_inexact 0
		.amdhsa_exception_int_div_zero 0
	.end_amdhsa_kernel
	.text
.Lfunc_end0:
	.size	bluestein_single_fwd_len935_dim1_sp_op_CI_CI, .Lfunc_end0-bluestein_single_fwd_len935_dim1_sp_op_CI_CI
                                        ; -- End function
	.section	.AMDGPU.csdata,"",@progbits
; Kernel info:
; codeLenInByte = 21576
; NumSgprs: 86
; NumVgprs: 256
; NumAgprs: 60
; TotalNumVgprs: 316
; ScratchSize: 0
; MemoryBound: 0
; FloatMode: 240
; IeeeMode: 1
; LDSByteSize: 22440 bytes/workgroup (compile time only)
; SGPRBlocks: 10
; VGPRBlocks: 39
; NumSGPRsForWavesPerEU: 86
; NumVGPRsForWavesPerEU: 316
; AccumOffset: 256
; Occupancy: 1
; WaveLimiterHint : 1
; COMPUTE_PGM_RSRC2:SCRATCH_EN: 0
; COMPUTE_PGM_RSRC2:USER_SGPR: 2
; COMPUTE_PGM_RSRC2:TRAP_HANDLER: 0
; COMPUTE_PGM_RSRC2:TGID_X_EN: 1
; COMPUTE_PGM_RSRC2:TGID_Y_EN: 0
; COMPUTE_PGM_RSRC2:TGID_Z_EN: 0
; COMPUTE_PGM_RSRC2:TIDIG_COMP_CNT: 0
; COMPUTE_PGM_RSRC3_GFX90A:ACCUM_OFFSET: 63
; COMPUTE_PGM_RSRC3_GFX90A:TG_SPLIT: 0
	.text
	.p2alignl 6, 3212836864
	.fill 256, 4, 3212836864
	.type	__hip_cuid_5111afdd8da484fc,@object ; @__hip_cuid_5111afdd8da484fc
	.section	.bss,"aw",@nobits
	.globl	__hip_cuid_5111afdd8da484fc
__hip_cuid_5111afdd8da484fc:
	.byte	0                               ; 0x0
	.size	__hip_cuid_5111afdd8da484fc, 1

	.ident	"AMD clang version 19.0.0git (https://github.com/RadeonOpenCompute/llvm-project roc-6.4.0 25133 c7fe45cf4b819c5991fe208aaa96edf142730f1d)"
	.section	".note.GNU-stack","",@progbits
	.addrsig
	.addrsig_sym __hip_cuid_5111afdd8da484fc
	.amdgpu_metadata
---
amdhsa.kernels:
  - .agpr_count:     60
    .args:
      - .actual_access:  read_only
        .address_space:  global
        .offset:         0
        .size:           8
        .value_kind:     global_buffer
      - .actual_access:  read_only
        .address_space:  global
        .offset:         8
        .size:           8
        .value_kind:     global_buffer
      - .actual_access:  read_only
        .address_space:  global
        .offset:         16
        .size:           8
        .value_kind:     global_buffer
      - .actual_access:  read_only
        .address_space:  global
        .offset:         24
        .size:           8
        .value_kind:     global_buffer
      - .actual_access:  read_only
        .address_space:  global
        .offset:         32
        .size:           8
        .value_kind:     global_buffer
      - .offset:         40
        .size:           8
        .value_kind:     by_value
      - .address_space:  global
        .offset:         48
        .size:           8
        .value_kind:     global_buffer
      - .address_space:  global
        .offset:         56
        .size:           8
        .value_kind:     global_buffer
      - .address_space:  global
        .offset:         64
        .size:           8
        .value_kind:     global_buffer
      - .address_space:  global
        .offset:         72
        .size:           8
        .value_kind:     global_buffer
      - .offset:         80
        .size:           4
        .value_kind:     by_value
      - .address_space:  global
        .offset:         88
        .size:           8
        .value_kind:     global_buffer
      - .address_space:  global
        .offset:         96
        .size:           8
        .value_kind:     global_buffer
    .group_segment_fixed_size: 22440
    .kernarg_segment_align: 8
    .kernarg_segment_size: 104
    .language:       OpenCL C
    .language_version:
      - 2
      - 0
    .max_flat_workgroup_size: 255
    .name:           bluestein_single_fwd_len935_dim1_sp_op_CI_CI
    .private_segment_fixed_size: 0
    .sgpr_count:     86
    .sgpr_spill_count: 0
    .symbol:         bluestein_single_fwd_len935_dim1_sp_op_CI_CI.kd
    .uniform_work_group_size: 1
    .uses_dynamic_stack: false
    .vgpr_count:     316
    .vgpr_spill_count: 0
    .wavefront_size: 64
amdhsa.target:   amdgcn-amd-amdhsa--gfx950
amdhsa.version:
  - 1
  - 2
...

	.end_amdgpu_metadata
